;; amdgpu-corpus repo=ROCm/rocFFT kind=compiled arch=gfx1201 opt=O3
	.text
	.amdgcn_target "amdgcn-amd-amdhsa--gfx1201"
	.amdhsa_code_object_version 6
	.protected	bluestein_single_back_len1372_dim1_dp_op_CI_CI ; -- Begin function bluestein_single_back_len1372_dim1_dp_op_CI_CI
	.globl	bluestein_single_back_len1372_dim1_dp_op_CI_CI
	.p2align	8
	.type	bluestein_single_back_len1372_dim1_dp_op_CI_CI,@function
bluestein_single_back_len1372_dim1_dp_op_CI_CI: ; @bluestein_single_back_len1372_dim1_dp_op_CI_CI
; %bb.0:
	s_load_b128 s[16:19], s[0:1], 0x28
	v_mul_u32_u24_e32 v1, 0x29d, v0
	v_mov_b32_e32 v255, 0
	s_mov_b32 s2, exec_lo
	s_delay_alu instid0(VALU_DEP_2) | instskip(NEXT) | instid1(VALU_DEP_1)
	v_lshrrev_b32_e32 v56, 16, v1
	v_lshl_add_u32 v254, ttmp9, 1, v56
	s_wait_kmcnt 0x0
	s_delay_alu instid0(VALU_DEP_1)
	v_cmpx_gt_u64_e64 s[16:17], v[254:255]
	s_cbranch_execz .LBB0_2
; %bb.1:
	s_clause 0x1
	s_load_b128 s[4:7], s[0:1], 0x18
	s_load_b128 s[8:11], s[0:1], 0x0
	v_mul_lo_u16 v1, 0x62, v56
	s_movk_i32 s2, 0xdb40
	s_mov_b32 s3, -1
	s_mov_b32 s23, 0xbfe11646
	s_mov_b32 s22, 0xe976ee23
	v_sub_nc_u16 v142, v0, v1
	s_mov_b32 s16, 0x429ad128
	s_mov_b32 s17, 0xbfebfeb5
	;; [unrolled: 1-line block ×4, first 2 shown]
	v_and_b32_e32 v113, 0xffff, v142
	s_mov_b32 s24, 0x37c3f68c
	s_mov_b32 s29, 0x3fe948f6
	;; [unrolled: 1-line block ×4, first 2 shown]
	v_lshlrev_b32_e32 v207, 4, v113
	s_mov_b32 s21, 0x3fe77f67
	s_mov_b32 s31, 0xbfe77f67
	s_wait_kmcnt 0x0
	s_load_b128 s[12:15], s[4:5], 0x0
	s_mov_b32 s35, 0x3fd5d0dc
	s_mov_b32 s27, 0xbfd5d0dc
	;; [unrolled: 1-line block ×4, first 2 shown]
	s_load_b64 s[0:1], s[0:1], 0x38
	s_wait_kmcnt 0x0
	v_mad_co_u64_u32 v[0:1], null, s14, v254, 0
	v_mad_co_u64_u32 v[2:3], null, s12, v113, 0
	s_mul_u64 s[4:5], s[12:13], 0x2ae0
	s_mov_b32 s14, s16
	s_delay_alu instid0(VALU_DEP_1) | instskip(SKIP_1) | instid1(VALU_DEP_1)
	v_mad_co_u64_u32 v[4:5], null, s15, v254, v[1:2]
	s_mov_b32 s15, 0x3febfeb5
	v_mad_co_u64_u32 v[5:6], null, s13, v113, v[3:4]
	v_mov_b32_e32 v1, v4
	s_mul_u64 s[12:13], s[12:13], s[2:3]
	s_delay_alu instid0(VALU_DEP_1) | instskip(NEXT) | instid1(VALU_DEP_3)
	v_lshlrev_b64_e32 v[0:1], 4, v[0:1]
	v_mov_b32_e32 v3, v5
	s_delay_alu instid0(VALU_DEP_2) | instskip(NEXT) | instid1(VALU_DEP_2)
	v_add_co_u32 v0, vcc_lo, s18, v0
	v_lshlrev_b64_e32 v[2:3], 4, v[2:3]
	s_delay_alu instid0(VALU_DEP_4) | instskip(SKIP_2) | instid1(VALU_DEP_2)
	v_add_co_ci_u32_e32 v1, vcc_lo, s19, v1, vcc_lo
	s_mov_b32 s18, 0xaaaaaaaa
	s_mov_b32 s19, 0xbff2aaaa
	v_add_co_u32 v0, vcc_lo, v0, v2
	s_wait_alu 0xfffd
	v_add_co_ci_u32_e32 v1, vcc_lo, v1, v3, vcc_lo
	s_delay_alu instid0(VALU_DEP_2) | instskip(SKIP_1) | instid1(VALU_DEP_2)
	v_add_co_u32 v2, vcc_lo, v0, s4
	s_wait_alu 0xfffd
	v_add_co_ci_u32_e32 v3, vcc_lo, s5, v1, vcc_lo
	global_load_b128 v[16:19], v207, s[8:9]
	global_load_b128 v[8:11], v[0:1], off
	global_load_b128 v[20:23], v207, s[8:9] offset:10976
	global_load_b128 v[12:15], v[2:3], off
	s_wait_alu 0xfffe
	v_add_co_u32 v2, vcc_lo, v2, s12
	s_wait_alu 0xfffd
	v_add_co_ci_u32_e32 v3, vcc_lo, s13, v3, vcc_lo
	s_wait_loadcnt 0x3
	v_mov_b32_e32 v27, v19
	s_wait_loadcnt 0x2
	v_mul_f64_e32 v[0:1], v[10:11], v[18:19]
	v_mul_f64_e32 v[4:5], v[8:9], v[18:19]
	v_dual_mov_b32 v26, v18 :: v_dual_mov_b32 v25, v17
	v_mov_b32_e32 v24, v16
	s_wait_loadcnt 0x0
	v_mul_f64_e32 v[6:7], v[14:15], v[22:23]
	v_mul_f64_e32 v[16:17], v[12:13], v[22:23]
	v_add_co_u32 v143, null, 0x62, v113
	s_delay_alu instid0(VALU_DEP_1)
	v_and_b32_e32 v145, 3, v143
	v_fma_f64 v[57:58], v[8:9], v[24:25], v[0:1]
	v_fma_f64 v[59:60], v[10:11], v[24:25], -v[4:5]
	global_load_b128 v[8:11], v207, s[8:9] offset:1568
	scratch_store_b128 off, v[20:23], off   ; 16-byte Folded Spill
	v_fma_f64 v[61:62], v[12:13], v[20:21], v[6:7]
	v_fma_f64 v[63:64], v[14:15], v[20:21], -v[16:17]
	global_load_b128 v[12:15], v[2:3], off
	s_wait_loadcnt 0x1
	scratch_store_b128 off, v[8:11], off offset:16 ; 16-byte Folded Spill
	s_wait_loadcnt 0x0
	v_mul_f64_e32 v[0:1], v[14:15], v[10:11]
	v_mul_f64_e32 v[4:5], v[12:13], v[10:11]
	s_delay_alu instid0(VALU_DEP_2) | instskip(SKIP_3) | instid1(VALU_DEP_4)
	v_fma_f64 v[65:66], v[12:13], v[8:9], v[0:1]
	v_add_co_u32 v0, vcc_lo, v2, s4
	s_wait_alu 0xfffd
	v_add_co_ci_u32_e32 v1, vcc_lo, s5, v3, vcc_lo
	v_fma_f64 v[67:68], v[14:15], v[8:9], -v[4:5]
	global_load_b128 v[6:9], v207, s[8:9] offset:12544
	scratch_store_b128 off, v[24:27], off offset:208 ; 16-byte Folded Spill
	global_load_b128 v[16:19], v[0:1], off
	v_add_co_u32 v0, vcc_lo, v0, s12
	s_wait_alu 0xfffd
	v_add_co_ci_u32_e32 v1, vcc_lo, s13, v1, vcc_lo
	global_load_b128 v[20:23], v[0:1], off
	v_add_co_u32 v0, vcc_lo, v0, s4
	s_wait_alu 0xfffd
	v_add_co_ci_u32_e32 v1, vcc_lo, s5, v1, vcc_lo
	;; [unrolled: 4-line block ×9, first 2 shown]
	s_mov_b32 s12, 0x36b3c0b5
	s_mov_b32 s13, 0x3fac98ee
	global_load_b128 v[52:55], v[0:1], off
	v_add_co_u32 v0, vcc_lo, v0, s4
	s_wait_alu 0xfffd
	v_add_co_ci_u32_e32 v1, vcc_lo, s5, v1, vcc_lo
	s_wait_loadcnt 0xa
	scratch_store_b128 off, v[6:9], off offset:32 ; 16-byte Folded Spill
	s_wait_loadcnt 0x9
	v_mul_f64_e32 v[2:3], v[18:19], v[8:9]
	v_mul_f64_e32 v[4:5], v[16:17], v[8:9]
	s_delay_alu instid0(VALU_DEP_2) | instskip(NEXT) | instid1(VALU_DEP_2)
	v_fma_f64 v[69:70], v[16:17], v[6:7], v[2:3]
	v_fma_f64 v[71:72], v[18:19], v[6:7], -v[4:5]
	global_load_b128 v[6:9], v207, s[8:9] offset:3136
	s_wait_loadcnt 0x0
	v_mul_f64_e32 v[2:3], v[22:23], v[8:9]
	v_mul_f64_e32 v[4:5], v[20:21], v[8:9]
	scratch_store_b128 off, v[6:9], off offset:48 ; 16-byte Folded Spill
	v_fma_f64 v[73:74], v[20:21], v[6:7], v[2:3]
	v_fma_f64 v[75:76], v[22:23], v[6:7], -v[4:5]
	global_load_b128 v[6:9], v207, s[8:9] offset:14112
	s_wait_loadcnt 0x0
	v_mul_f64_e32 v[2:3], v[26:27], v[8:9]
	v_mul_f64_e32 v[4:5], v[24:25], v[8:9]
	scratch_store_b128 off, v[6:9], off offset:64 ; 16-byte Folded Spill
	;; [unrolled: 7-line block ×3, first 2 shown]
	v_fma_f64 v[81:82], v[28:29], v[6:7], v[2:3]
	v_fma_f64 v[83:84], v[30:31], v[6:7], -v[4:5]
	global_load_b128 v[6:9], v207, s[8:9] offset:15680
	v_dual_mov_b32 v29, v113 :: v_dual_lshlrev_b32 v28, 1, v113
	s_wait_loadcnt 0x0
	v_mul_f64_e32 v[2:3], v[34:35], v[8:9]
	v_mul_f64_e32 v[4:5], v[32:33], v[8:9]
	scratch_store_b128 off, v[6:9], off offset:96 ; 16-byte Folded Spill
	v_fma_f64 v[85:86], v[32:33], v[6:7], v[2:3]
	v_fma_f64 v[87:88], v[34:35], v[6:7], -v[4:5]
	v_mov_b32_e32 v32, v29
	global_load_b128 v[6:9], v207, s[8:9] offset:6272
	s_wait_loadcnt 0x0
	v_mul_f64_e32 v[2:3], v[38:39], v[8:9]
	v_mul_f64_e32 v[4:5], v[36:37], v[8:9]
	scratch_store_b128 off, v[6:9], off offset:112 ; 16-byte Folded Spill
	v_fma_f64 v[89:90], v[36:37], v[6:7], v[2:3]
	v_fma_f64 v[91:92], v[38:39], v[6:7], -v[4:5]
	global_load_b128 v[6:9], v207, s[8:9] offset:17248
	s_wait_loadcnt 0x0
	v_mul_f64_e32 v[2:3], v[42:43], v[8:9]
	v_mul_f64_e32 v[4:5], v[40:41], v[8:9]
	scratch_store_b128 off, v[6:9], off offset:128 ; 16-byte Folded Spill
	v_fma_f64 v[93:94], v[40:41], v[6:7], v[2:3]
	v_fma_f64 v[95:96], v[42:43], v[6:7], -v[4:5]
	;; [unrolled: 7-line block ×5, first 2 shown]
	global_load_b128 v[109:112], v[0:1], off
	global_load_b128 v[4:7], v207, s[8:9] offset:20384
	s_wait_loadcnt 0x0
	v_mul_f64_e32 v[0:1], v[111:112], v[6:7]
	v_mul_f64_e32 v[2:3], v[109:110], v[6:7]
	scratch_store_b128 off, v[4:7], off offset:192 ; 16-byte Folded Spill
	v_fma_f64 v[109:110], v[109:110], v[4:5], v[0:1]
	v_fma_f64 v[111:112], v[111:112], v[4:5], -v[2:3]
	v_and_b32_e32 v0, 1, v56
	s_delay_alu instid0(VALU_DEP_1) | instskip(SKIP_2) | instid1(VALU_DEP_1)
	v_cmp_eq_u32_e32 vcc_lo, 1, v0
	s_wait_alu 0xfffd
	v_cndmask_b32_e64 v156, 0, 0x55c0, vcc_lo
	v_add_nc_u32_e32 v206, v156, v207
	ds_store_b128 v206, v[57:60]
	ds_store_b128 v206, v[61:64] offset:10976
	ds_store_b128 v206, v[65:68] offset:1568
	;; [unrolled: 1-line block ×13, first 2 shown]
	s_load_b128 s[4:7], s[6:7], 0x0
	global_wb scope:SCOPE_SE
	s_wait_storecnt_dscnt 0x0
	s_wait_kmcnt 0x0
	s_barrier_signal -1
	s_barrier_wait -1
	global_inv scope:SCOPE_SE
	ds_load_b128 v[56:59], v206 offset:10976
	ds_load_b128 v[60:63], v206
	ds_load_b128 v[64:67], v206 offset:1568
	ds_load_b128 v[68:71], v206 offset:12544
	;; [unrolled: 1-line block ×12, first 2 shown]
	v_lshl_add_u32 v0, v113, 5, v156
	global_wb scope:SCOPE_SE
	s_wait_dscnt 0x0
	s_barrier_signal -1
	s_barrier_wait -1
	global_inv scope:SCOPE_SE
	scratch_store_b32 off, v0, off offset:252 ; 4-byte Folded Spill
	s_mul_u64 s[2:3], s[4:5], s[2:3]
	v_add_f64_e64 v[56:57], v[60:61], -v[56:57]
	v_add_f64_e64 v[58:59], v[62:63], -v[58:59]
	;; [unrolled: 1-line block ×14, first 2 shown]
	v_fma_f64 v[60:61], v[60:61], 2.0, -v[56:57]
	v_fma_f64 v[62:63], v[62:63], 2.0, -v[58:59]
	;; [unrolled: 1-line block ×14, first 2 shown]
	ds_store_b128 v0, v[56:59] offset:16
	ds_store_b128 v0, v[60:63]
	v_lshl_add_u32 v0, v143, 5, v156
	v_add_nc_u32_e32 v60, 0x188, v28
	v_add_nc_u32_e32 v61, 0x24c, v28
	;; [unrolled: 1-line block ×4, first 2 shown]
	scratch_store_b32 off, v0, off offset:248 ; 4-byte Folded Spill
	ds_store_b128 v0, v[64:67]
	ds_store_b128 v0, v[68:71] offset:16
	v_lshl_add_u32 v0, v60, 4, v156
	v_add_nc_u32_e32 v64, 0x498, v28
	v_and_b32_e32 v65, 1, v113
	scratch_store_b32 off, v0, off offset:244 ; 4-byte Folded Spill
	ds_store_b128 v0, v[76:79]
	ds_store_b128 v0, v[72:75] offset:16
	v_lshl_add_u32 v0, v61, 4, v156
	scratch_store_b32 off, v0, off offset:240 ; 4-byte Folded Spill
	ds_store_b128 v0, v[80:83]
	ds_store_b128 v0, v[84:87] offset:16
	v_lshl_add_u32 v0, v62, 4, v156
	scratch_store_b32 off, v0, off offset:236 ; 4-byte Folded Spill
	ds_store_b128 v0, v[92:95]
	ds_store_b128 v0, v[88:91] offset:16
	v_lshl_add_u32 v0, v63, 4, v156
	scratch_store_b32 off, v0, off offset:232 ; 4-byte Folded Spill
	ds_store_b128 v0, v[96:99]
	ds_store_b128 v0, v[100:103] offset:16
	v_lshl_add_u32 v0, v64, 4, v156
	scratch_store_b32 off, v0, off offset:228 ; 4-byte Folded Spill
	ds_store_b128 v0, v[104:107]
	ds_store_b128 v0, v[108:111] offset:16
	v_lshlrev_b32_e32 v0, 4, v65
	global_wb scope:SCOPE_SE
	s_wait_storecnt_dscnt 0x0
	s_barrier_signal -1
	s_barrier_wait -1
	global_inv scope:SCOPE_SE
	global_load_b128 v[56:59], v0, s[10:11]
	ds_load_b128 v[66:69], v206 offset:10976
	ds_load_b128 v[114:117], v206 offset:9408
	;; [unrolled: 1-line block ×6, first 2 shown]
	v_and_b32_e32 v144, 3, v29
	ds_load_b128 v[74:77], v206 offset:1568
	s_wait_loadcnt_dscnt 0x6
	v_mul_f64_e32 v[0:1], v[68:69], v[58:59]
	v_mul_f64_e32 v[2:3], v[66:67], v[58:59]
	s_delay_alu instid0(VALU_DEP_2) | instskip(NEXT) | instid1(VALU_DEP_2)
	v_fma_f64 v[0:1], v[66:67], v[56:57], -v[0:1]
	v_fma_f64 v[2:3], v[68:69], v[56:57], v[2:3]
	ds_load_b128 v[66:69], v206 offset:12544
	s_wait_dscnt 0x0
	v_mul_f64_e32 v[4:5], v[68:69], v[58:59]
	v_mul_f64_e32 v[6:7], v[66:67], v[58:59]
	s_delay_alu instid0(VALU_DEP_2) | instskip(NEXT) | instid1(VALU_DEP_2)
	v_fma_f64 v[4:5], v[66:67], v[56:57], -v[4:5]
	v_fma_f64 v[6:7], v[68:69], v[56:57], v[6:7]
	ds_load_b128 v[66:69], v206 offset:14112
	s_wait_dscnt 0x0
	v_mul_f64_e32 v[8:9], v[68:69], v[58:59]
	v_mul_f64_e32 v[10:11], v[66:67], v[58:59]
	v_add_f64_e64 v[78:79], v[74:75], -v[4:5]
	v_add_f64_e64 v[80:81], v[76:77], -v[6:7]
	s_delay_alu instid0(VALU_DEP_4) | instskip(NEXT) | instid1(VALU_DEP_4)
	v_fma_f64 v[8:9], v[66:67], v[56:57], -v[8:9]
	v_fma_f64 v[10:11], v[68:69], v[56:57], v[10:11]
	ds_load_b128 v[66:69], v206 offset:15680
	v_fma_f64 v[74:75], v[74:75], 2.0, -v[78:79]
	v_fma_f64 v[76:77], v[76:77], 2.0, -v[80:81]
	s_wait_dscnt 0x0
	v_mul_f64_e32 v[12:13], v[68:69], v[58:59]
	v_mul_f64_e32 v[14:15], v[66:67], v[58:59]
	v_add_f64_e64 v[86:87], v[82:83], -v[8:9]
	v_add_f64_e64 v[88:89], v[84:85], -v[10:11]
	s_delay_alu instid0(VALU_DEP_4) | instskip(NEXT) | instid1(VALU_DEP_4)
	v_fma_f64 v[12:13], v[66:67], v[56:57], -v[12:13]
	v_fma_f64 v[14:15], v[68:69], v[56:57], v[14:15]
	ds_load_b128 v[66:69], v206 offset:17248
	v_fma_f64 v[82:83], v[82:83], 2.0, -v[86:87]
	v_fma_f64 v[84:85], v[84:85], 2.0, -v[88:89]
	;; [unrolled: 11-line block ×3, first 2 shown]
	s_wait_dscnt 0x0
	v_mul_f64_e32 v[20:21], v[68:69], v[58:59]
	v_mul_f64_e32 v[22:23], v[66:67], v[58:59]
	v_add_f64_e64 v[102:103], v[98:99], -v[16:17]
	v_add_f64_e64 v[104:105], v[100:101], -v[18:19]
	v_mad_co_u64_u32 v[18:19], null, 0x60, v145, s[10:11]
	v_fma_f64 v[20:21], v[66:67], v[56:57], -v[20:21]
	v_fma_f64 v[22:23], v[68:69], v[56:57], v[22:23]
	ds_load_b128 v[66:69], v206 offset:20384
	v_fma_f64 v[98:99], v[98:99], 2.0, -v[102:103]
	v_fma_f64 v[100:101], v[100:101], 2.0, -v[104:105]
	s_wait_dscnt 0x0
	v_mul_f64_e32 v[24:25], v[68:69], v[58:59]
	v_mul_f64_e32 v[26:27], v[66:67], v[58:59]
	v_add_f64_e64 v[110:111], v[106:107], -v[20:21]
	v_add_f64_e64 v[112:113], v[108:109], -v[22:23]
	s_delay_alu instid0(VALU_DEP_4) | instskip(NEXT) | instid1(VALU_DEP_4)
	v_fma_f64 v[24:25], v[66:67], v[56:57], -v[24:25]
	v_fma_f64 v[26:27], v[68:69], v[56:57], v[26:27]
	ds_load_b128 v[66:69], v206
	global_wb scope:SCOPE_SE
	s_wait_dscnt 0x0
	s_barrier_signal -1
	s_barrier_wait -1
	global_inv scope:SCOPE_SE
	v_fma_f64 v[106:107], v[106:107], 2.0, -v[110:111]
	v_fma_f64 v[108:109], v[108:109], 2.0, -v[112:113]
	v_add_f64_e64 v[70:71], v[66:67], -v[0:1]
	v_add_f64_e64 v[72:73], v[68:69], -v[2:3]
	v_and_or_b32 v0, 0xfc, v28, v65
	s_delay_alu instid0(VALU_DEP_1) | instskip(SKIP_1) | instid1(VALU_DEP_1)
	v_lshl_add_u32 v255, v0, 4, v156
	v_lshlrev_b32_e32 v0, 1, v143
	v_and_or_b32 v0, 0x1fc, v0, v65
	v_add_f64_e64 v[118:119], v[114:115], -v[24:25]
	v_add_f64_e64 v[120:121], v[116:117], -v[26:27]
	s_delay_alu instid0(VALU_DEP_3)
	v_lshl_add_u32 v0, v0, 4, v156
	v_fma_f64 v[66:67], v[66:67], 2.0, -v[70:71]
	v_fma_f64 v[68:69], v[68:69], 2.0, -v[72:73]
	ds_store_b128 v255, v[70:73] offset:32
	ds_store_b128 v255, v[66:69]
	scratch_store_b32 off, v0, off offset:276 ; 4-byte Folded Spill
	ds_store_b128 v0, v[74:77]
	ds_store_b128 v0, v[78:81] offset:32
	v_and_or_b32 v0, 0x3fc, v60, v65
	v_fma_f64 v[114:115], v[114:115], 2.0, -v[118:119]
	v_fma_f64 v[116:117], v[116:117], 2.0, -v[120:121]
	s_delay_alu instid0(VALU_DEP_3) | instskip(SKIP_4) | instid1(VALU_DEP_1)
	v_lshl_add_u32 v0, v0, 4, v156
	scratch_store_b32 off, v0, off offset:272 ; 4-byte Folded Spill
	ds_store_b128 v0, v[82:85]
	ds_store_b128 v0, v[86:89] offset:32
	v_and_or_b32 v0, 0x3fc, v61, v65
	v_lshl_add_u32 v0, v0, 4, v156
	scratch_store_b32 off, v0, off offset:268 ; 4-byte Folded Spill
	ds_store_b128 v0, v[90:93]
	ds_store_b128 v0, v[94:97] offset:32
	v_and_or_b32 v0, 0x7fc, v62, v65
	s_delay_alu instid0(VALU_DEP_1) | instskip(SKIP_4) | instid1(VALU_DEP_1)
	v_lshl_add_u32 v0, v0, 4, v156
	scratch_store_b32 off, v0, off offset:264 ; 4-byte Folded Spill
	ds_store_b128 v0, v[98:101]
	ds_store_b128 v0, v[102:105] offset:32
	v_and_or_b32 v0, 0x7fc, v63, v65
	v_lshl_add_u32 v0, v0, 4, v156
	scratch_store_b32 off, v0, off offset:260 ; 4-byte Folded Spill
	ds_store_b128 v0, v[106:109]
	ds_store_b128 v0, v[110:113] offset:32
	v_and_or_b32 v0, 0x5fc, v64, v65
	s_delay_alu instid0(VALU_DEP_1)
	v_lshl_add_u32 v0, v0, 4, v156
	scratch_store_b32 off, v0, off offset:256 ; 4-byte Folded Spill
	ds_store_b128 v0, v[114:117]
	ds_store_b128 v0, v[118:121] offset:32
	v_mad_co_u64_u32 v[0:1], null, 0x60, v144, s[10:11]
	global_wb scope:SCOPE_SE
	s_wait_storecnt_dscnt 0x0
	s_barrier_signal -1
	s_barrier_wait -1
	global_inv scope:SCOPE_SE
	s_clause 0x5
	global_load_b128 v[88:91], v[18:19], off offset:32
	global_load_b128 v[96:99], v[18:19], off offset:48
	;; [unrolled: 1-line block ×6, first 2 shown]
	ds_load_b128 v[68:71], v206 offset:18816
	s_clause 0x2
	global_load_b128 v[80:83], v[18:19], off offset:112
	global_load_b128 v[72:75], v[18:19], off offset:96
	;; [unrolled: 1-line block ×3, first 2 shown]
	ds_load_b128 v[64:67], v206 offset:3136
	s_clause 0x1
	global_load_b128 v[76:79], v[0:1], off offset:64
	global_load_b128 v[84:87], v[0:1], off offset:80
	scratch_store_b32 off, v32, off offset:224 ; 4-byte Folded Spill
	ds_load_b128 v[92:95], v206 offset:10976
	ds_load_b128 v[108:111], v206 offset:14112
	s_wait_loadcnt_dscnt 0x803
	v_mul_f64_e32 v[10:11], v[70:71], v[218:219]
	v_mul_f64_e32 v[12:13], v[68:69], v[218:219]
	s_wait_loadcnt_dscnt 0x201
	v_mul_f64_e32 v[26:27], v[94:95], v[214:215]
	s_delay_alu instid0(VALU_DEP_3) | instskip(NEXT) | instid1(VALU_DEP_3)
	v_fma_f64 v[10:11], v[68:69], v[216:217], -v[10:11]
	v_fma_f64 v[12:13], v[70:71], v[216:217], v[12:13]
	ds_load_b128 v[68:71], v206 offset:15680
	v_fma_f64 v[134:135], v[92:93], v[212:213], -v[26:27]
	v_mul_f64_e32 v[26:27], v[92:93], v[214:215]
	s_wait_dscnt 0x0
	v_mul_f64_e32 v[14:15], v[70:71], v[102:103]
	v_mul_f64_e32 v[16:17], v[68:69], v[102:103]
	s_delay_alu instid0(VALU_DEP_3)
	v_fma_f64 v[132:133], v[94:95], v[212:213], v[26:27]
	global_load_b128 v[92:95], v[18:19], off offset:80
	v_fma_f64 v[14:15], v[68:69], v[100:101], -v[14:15]
	v_fma_f64 v[16:17], v[70:71], v[100:101], v[16:17]
	ds_load_b128 v[68:71], v206 offset:4704
	v_mul_f64_e32 v[2:3], v[66:67], v[222:223]
	v_mul_f64_e32 v[4:5], v[64:65], v[222:223]
	s_wait_dscnt 0x0
	v_mul_f64_e32 v[20:21], v[70:71], v[90:91]
	s_delay_alu instid0(VALU_DEP_3) | instskip(NEXT) | instid1(VALU_DEP_3)
	v_fma_f64 v[2:3], v[64:65], v[220:221], -v[2:3]
	v_fma_f64 v[4:5], v[66:67], v[220:221], v[4:5]
	ds_load_b128 v[64:67], v206 offset:6272
	v_fma_f64 v[118:119], v[68:69], v[88:89], -v[20:21]
	v_mul_f64_e32 v[20:21], v[68:69], v[90:91]
	v_add_f64_e32 v[140:141], v[2:3], v[10:11]
	v_add_f64_e32 v[30:31], v[4:5], v[12:13]
	v_add_f64_e64 v[2:3], v[2:3], -v[10:11]
	v_add_f64_e64 v[4:5], v[4:5], -v[12:13]
	v_fma_f64 v[116:117], v[70:71], v[88:89], v[20:21]
	ds_load_b128 v[68:71], v206 offset:7840
	s_wait_dscnt 0x1
	v_mul_f64_e32 v[8:9], v[64:65], v[106:107]
	v_mul_f64_e32 v[6:7], v[66:67], v[106:107]
	s_wait_dscnt 0x0
	v_mul_f64_e32 v[20:21], v[70:71], v[98:99]
	s_delay_alu instid0(VALU_DEP_3) | instskip(NEXT) | instid1(VALU_DEP_3)
	v_fma_f64 v[8:9], v[66:67], v[104:105], v[8:9]
	v_fma_f64 v[6:7], v[64:65], v[104:105], -v[6:7]
	s_delay_alu instid0(VALU_DEP_3) | instskip(SKIP_1) | instid1(VALU_DEP_4)
	v_fma_f64 v[122:123], v[68:69], v[96:97], -v[20:21]
	v_mul_f64_e32 v[20:21], v[68:69], v[98:99]
	v_add_f64_e32 v[146:147], v[8:9], v[16:17]
	v_add_f64_e64 v[8:9], v[8:9], -v[16:17]
	s_delay_alu instid0(VALU_DEP_3) | instskip(SKIP_4) | instid1(VALU_DEP_1)
	v_fma_f64 v[120:121], v[70:71], v[96:97], v[20:21]
	ds_load_b128 v[68:71], v206 offset:20384
	v_add_f64_e64 v[157:158], v[146:147], -v[30:31]
	s_wait_dscnt 0x0
	v_mul_f64_e32 v[20:21], v[70:71], v[82:83]
	v_fma_f64 v[126:127], v[68:69], v[80:81], -v[20:21]
	v_mul_f64_e32 v[20:21], v[68:69], v[82:83]
	s_delay_alu instid0(VALU_DEP_2) | instskip(NEXT) | instid1(VALU_DEP_2)
	v_add_f64_e32 v[173:174], v[118:119], v[126:127]
	v_fma_f64 v[124:125], v[70:71], v[80:81], v[20:21]
	ds_load_b128 v[68:71], v206 offset:17248
	s_wait_loadcnt 0x0
	v_mul_f64_e32 v[18:19], v[110:111], v[94:95]
	s_wait_dscnt 0x0
	v_mul_f64_e32 v[20:21], v[70:71], v[74:75]
	v_add_f64_e32 v[181:182], v[116:117], v[124:125]
	s_delay_alu instid0(VALU_DEP_3)
	v_fma_f64 v[138:139], v[108:109], v[92:93], -v[18:19]
	v_mul_f64_e32 v[18:19], v[108:109], v[94:95]
	v_add_f64_e32 v[108:109], v[146:147], v[30:31]
	v_fma_f64 v[130:131], v[68:69], v[72:73], -v[20:21]
	v_mul_f64_e32 v[20:21], v[68:69], v[74:75]
	v_add_f64_e32 v[177:178], v[134:135], v[138:139]
	v_fma_f64 v[136:137], v[110:111], v[92:93], v[18:19]
	v_add_f64_e32 v[18:19], v[6:7], v[14:15]
	v_add_f64_e64 v[6:7], v[6:7], -v[14:15]
	v_add_f64_e32 v[175:176], v[122:123], v[130:131]
	v_fma_f64 v[128:129], v[70:71], v[72:73], v[20:21]
	ds_load_b128 v[68:71], v206 offset:9408
	s_wait_dscnt 0x0
	v_mul_f64_e32 v[20:21], v[70:71], v[78:79]
	v_mul_f64_e32 v[22:23], v[68:69], v[78:79]
	v_add_f64_e32 v[185:186], v[132:133], v[136:137]
	v_add_f64_e32 v[28:29], v[18:19], v[140:141]
	v_add_f64_e64 v[14:15], v[6:7], -v[2:3]
	v_add_f64_e32 v[112:113], v[175:176], v[173:174]
	v_add_f64_e32 v[183:184], v[120:121], v[128:129]
	v_fma_f64 v[20:21], v[68:69], v[76:77], -v[20:21]
	v_fma_f64 v[22:23], v[70:71], v[76:77], v[22:23]
	ds_load_b128 v[68:71], v206 offset:12544
	v_add_f64_e32 v[179:180], v[177:178], v[112:113]
	v_add_f64_e32 v[112:113], v[183:184], v[181:182]
	s_wait_dscnt 0x0
	v_mul_f64_e32 v[0:1], v[70:71], v[86:87]
	v_mul_f64_e32 v[24:25], v[68:69], v[86:87]
	s_delay_alu instid0(VALU_DEP_3)
	v_add_f64_e32 v[187:188], v[185:186], v[112:113]
	ds_load_b128 v[112:115], v206 offset:1568
	v_fma_f64 v[0:1], v[68:69], v[84:85], -v[0:1]
	v_fma_f64 v[24:25], v[70:71], v[84:85], v[24:25]
	s_wait_dscnt 0x0
	v_add_f64_e32 v[112:113], v[112:113], v[179:180]
	v_add_f64_e32 v[114:115], v[114:115], v[187:188]
	s_delay_alu instid0(VALU_DEP_4) | instskip(NEXT) | instid1(VALU_DEP_4)
	v_add_f64_e32 v[26:27], v[20:21], v[0:1]
	v_add_f64_e32 v[154:155], v[22:23], v[24:25]
	v_add_f64_e64 v[0:1], v[0:1], -v[20:21]
	v_add_f64_e64 v[10:11], v[24:25], -v[22:23]
	;; [unrolled: 1-line block ×3, first 2 shown]
	v_add_f64_e32 v[28:29], v[26:27], v[28:29]
	v_add_f64_e32 v[148:149], v[154:155], v[108:109]
	v_add_f64_e64 v[12:13], v[0:1], -v[6:7]
	ds_load_b128 v[108:111], v206
	v_add_f64_e32 v[6:7], v[0:1], v[6:7]
	v_add_f64_e64 v[16:17], v[10:11], -v[8:9]
	v_add_f64_e32 v[8:9], v[10:11], v[8:9]
	v_add_f64_e64 v[22:23], v[26:27], -v[18:19]
	v_add_f64_e64 v[24:25], v[154:155], -v[146:147]
	;; [unrolled: 1-line block ×6, first 2 shown]
	global_wb scope:SCOPE_SE
	s_wait_storecnt_dscnt 0x0
	s_barrier_signal -1
	s_barrier_wait -1
	global_inv scope:SCOPE_SE
	v_add_f64_e32 v[108:109], v[108:109], v[28:29]
	v_add_f64_e32 v[110:111], v[110:111], v[148:149]
	v_mul_f64_e32 v[12:13], s[22:23], v[12:13]
	v_add_f64_e32 v[6:7], v[6:7], v[2:3]
	v_mul_f64_e32 v[16:17], s[22:23], v[16:17]
	;; [unrolled: 2-line block ×3, first 2 shown]
	v_mul_f64_e32 v[150:151], s[12:13], v[24:25]
	v_add_f64_e64 v[2:3], v[4:5], -v[10:11]
	v_mul_f64_e32 v[4:5], s[16:17], v[14:15]
	v_mul_f64_e32 v[10:11], s[16:17], v[20:21]
	v_fma_f64 v[28:29], v[28:29], s[18:19], v[108:109]
	v_fma_f64 v[165:166], v[148:149], s[18:19], v[110:111]
	v_fma_f64 v[148:149], v[14:15], s[14:15], -v[12:13]
	v_mul_f64_e32 v[14:15], s[28:29], v[26:27]
	v_fma_f64 v[146:147], v[18:19], s[20:21], -v[146:147]
	v_fma_f64 v[150:151], v[157:158], s[20:21], -v[150:151]
	v_fma_f64 v[4:5], v[0:1], s[26:27], v[4:5]
	v_fma_f64 v[10:11], v[2:3], s[26:27], v[10:11]
	v_fma_f64 v[0:1], v[0:1], s[34:35], v[12:13]
	v_fma_f64 v[2:3], v[2:3], s[34:35], v[16:17]
	v_fma_f64 v[152:153], v[6:7], s[24:25], v[148:149]
	v_fma_f64 v[148:149], v[20:21], s[14:15], -v[16:17]
	v_mul_f64_e32 v[20:21], s[28:29], v[30:31]
	v_fma_f64 v[18:19], v[18:19], s[30:31], -v[14:15]
	v_add_f64_e32 v[161:162], v[146:147], v[28:29]
	v_add_f64_e32 v[163:164], v[150:151], v[165:166]
	v_fma_f64 v[4:5], v[6:7], s[24:25], v[4:5]
	v_fma_f64 v[10:11], v[8:9], s[24:25], v[10:11]
	;; [unrolled: 1-line block ×5, first 2 shown]
	v_fma_f64 v[26:27], v[157:158], s[30:31], -v[20:21]
	v_add_f64_e32 v[18:19], v[18:19], v[28:29]
	v_add_f64_e64 v[8:9], v[136:137], -v[132:133]
	v_fma_f64 v[132:133], v[179:180], s[18:19], v[112:113]
	v_add_f64_e32 v[148:149], v[152:153], v[163:164]
	v_add_f64_e64 v[152:153], v[163:164], -v[152:153]
	v_add_f64_e64 v[146:147], v[161:162], -v[159:160]
	v_add_f64_e32 v[26:27], v[26:27], v[165:166]
	v_add_f64_e32 v[150:151], v[159:160], v[161:162]
	;; [unrolled: 1-line block ×3, first 2 shown]
	v_add_f64_e64 v[161:162], v[18:19], -v[10:11]
	v_fma_f64 v[10:11], v[24:25], s[12:13], v[20:21]
	v_add_f64_e64 v[20:21], v[177:178], -v[175:176]
	v_add_f64_e64 v[24:25], v[185:186], -v[183:184]
	;; [unrolled: 1-line block ×3, first 2 shown]
	v_add_f64_e32 v[163:164], v[4:5], v[26:27]
	v_fma_f64 v[4:5], v[22:23], s[12:13], v[14:15]
	v_add_f64_e64 v[22:23], v[175:176], -v[173:174]
	v_add_f64_e32 v[6:7], v[10:11], v[165:166]
	v_add_f64_e64 v[10:11], v[116:117], -v[124:125]
	v_add_f64_e64 v[26:27], v[183:184], -v[181:182]
	v_mul_f64_e32 v[30:31], s[12:13], v[24:25]
	v_add_f64_e32 v[4:5], v[4:5], v[28:29]
	v_mul_f64_e32 v[28:29], s[12:13], v[20:21]
	v_add_f64_e64 v[167:168], v[6:7], -v[0:1]
	v_add_f64_e32 v[171:172], v[0:1], v[6:7]
	v_add_f64_e64 v[0:1], v[122:123], -v[130:131]
	v_add_f64_e64 v[6:7], v[120:121], -v[128:129]
	v_fma_f64 v[30:31], v[26:27], s[20:21], -v[30:31]
	v_add_f64_e32 v[165:166], v[2:3], v[4:5]
	v_add_f64_e64 v[169:170], v[4:5], -v[2:3]
	v_add_f64_e64 v[2:3], v[138:139], -v[134:135]
	;; [unrolled: 1-line block ×3, first 2 shown]
	v_fma_f64 v[28:29], v[22:23], s[20:21], -v[28:29]
	v_add_f64_e64 v[16:17], v[8:9], -v[6:7]
	v_add_f64_e64 v[18:19], v[6:7], -v[10:11]
	v_add_f64_e32 v[6:7], v[8:9], v[6:7]
	v_fma_f64 v[134:135], v[187:188], s[18:19], v[114:115]
	v_add_f64_e64 v[12:13], v[2:3], -v[0:1]
	v_add_f64_e64 v[14:15], v[0:1], -v[4:5]
	v_add_f64_e32 v[0:1], v[2:3], v[0:1]
	v_mul_f64_e32 v[16:17], s[22:23], v[16:17]
	v_add_f64_e32 v[28:29], v[28:29], v[132:133]
	v_add_f64_e32 v[6:7], v[6:7], v[10:11]
	;; [unrolled: 1-line block ×3, first 2 shown]
	v_add_f64_e64 v[2:3], v[4:5], -v[2:3]
	v_mul_f64_e32 v[12:13], s[22:23], v[12:13]
	v_add_f64_e32 v[0:1], v[0:1], v[4:5]
	v_add_f64_e64 v[4:5], v[10:11], -v[8:9]
	v_mul_f64_e32 v[8:9], s[16:17], v[14:15]
	v_mul_f64_e32 v[10:11], s[16:17], v[18:19]
	v_fma_f64 v[116:117], v[14:15], s[14:15], -v[12:13]
	s_delay_alu instid0(VALU_DEP_3) | instskip(NEXT) | instid1(VALU_DEP_3)
	v_fma_f64 v[8:9], v[2:3], s[26:27], v[8:9]
	v_fma_f64 v[10:11], v[4:5], s[26:27], v[10:11]
	;; [unrolled: 1-line block ×5, first 2 shown]
	v_fma_f64 v[116:117], v[18:19], s[14:15], -v[16:17]
	v_fma_f64 v[8:9], v[0:1], s[24:25], v[8:9]
	v_fma_f64 v[10:11], v[6:7], s[24:25], v[10:11]
	;; [unrolled: 1-line block ×4, first 2 shown]
	v_add_f64_e32 v[118:119], v[122:123], v[30:31]
	v_fma_f64 v[120:121], v[6:7], s[24:25], v[116:117]
	v_add_f64_e64 v[122:123], v[30:31], -v[122:123]
	v_add_f64_e64 v[30:31], v[181:182], -v[185:186]
	s_delay_alu instid0(VALU_DEP_3) | instskip(SKIP_2) | instid1(VALU_DEP_4)
	v_add_f64_e64 v[116:117], v[28:29], -v[120:121]
	v_add_f64_e32 v[120:121], v[120:121], v[28:29]
	v_add_f64_e64 v[28:29], v[173:174], -v[177:178]
	v_mul_f64_e32 v[18:19], s[28:29], v[30:31]
	s_delay_alu instid0(VALU_DEP_2) | instskip(NEXT) | instid1(VALU_DEP_2)
	v_mul_f64_e32 v[14:15], s[28:29], v[28:29]
	v_fma_f64 v[26:27], v[26:27], s[30:31], -v[18:19]
	s_delay_alu instid0(VALU_DEP_2) | instskip(NEXT) | instid1(VALU_DEP_2)
	v_fma_f64 v[22:23], v[22:23], s[30:31], -v[14:15]
	v_add_f64_e32 v[26:27], v[26:27], v[134:135]
	s_delay_alu instid0(VALU_DEP_2) | instskip(NEXT) | instid1(VALU_DEP_2)
	v_add_f64_e32 v[22:23], v[22:23], v[132:133]
	v_add_f64_e64 v[126:127], v[26:27], -v[8:9]
	v_add_f64_e32 v[130:131], v[8:9], v[26:27]
	v_fma_f64 v[8:9], v[20:21], s[12:13], v[14:15]
	s_delay_alu instid0(VALU_DEP_4) | instskip(SKIP_2) | instid1(VALU_DEP_4)
	v_add_f64_e32 v[124:125], v[10:11], v[22:23]
	v_add_f64_e64 v[128:129], v[22:23], -v[10:11]
	v_fma_f64 v[10:11], v[24:25], s[12:13], v[18:19]
	v_add_f64_e32 v[4:5], v[8:9], v[132:133]
	v_lshrrev_b16 v24, 2, v143
	s_delay_alu instid0(VALU_DEP_1) | instskip(NEXT) | instid1(VALU_DEP_1)
	v_and_b32_e32 v24, 63, v24
	v_mul_lo_u16 v24, v24, 37
	v_add_f64_e32 v[6:7], v[10:11], v[134:135]
	v_add_f64_e32 v[132:133], v[2:3], v[4:5]
	v_add_f64_e64 v[136:137], v[4:5], -v[2:3]
	s_delay_alu instid0(VALU_DEP_3) | instskip(SKIP_2) | instid1(VALU_DEP_1)
	v_add_f64_e64 v[134:135], v[6:7], -v[0:1]
	v_add_f64_e32 v[138:139], v[0:1], v[6:7]
	v_lshrrev_b32_e32 v0, 2, v32
	v_mul_u32_u24_e32 v0, 28, v0
	s_delay_alu instid0(VALU_DEP_1) | instskip(NEXT) | instid1(VALU_DEP_1)
	v_or_b32_e32 v0, v0, v144
	v_lshl_add_u32 v205, v0, 4, v156
	v_lshrrev_b32_e32 v0, 2, v143
	ds_store_b128 v205, v[108:111]
	ds_store_b128 v205, v[165:168] offset:64
	ds_store_b128 v205, v[157:160] offset:128
	;; [unrolled: 1-line block ×6, first 2 shown]
	v_mul_u32_u24_e32 v0, 28, v0
	v_lshrrev_b16 v157, 8, v24
	s_delay_alu instid0(VALU_DEP_2) | instskip(NEXT) | instid1(VALU_DEP_2)
	v_or_b32_e32 v0, v0, v145
	v_mul_lo_u16 v24, v157, 28
	s_delay_alu instid0(VALU_DEP_2) | instskip(SKIP_1) | instid1(VALU_DEP_3)
	v_lshl_add_u32 v204, v0, 4, v156
	v_lshrrev_b16 v0, 2, v142
	v_sub_nc_u16 v24, v143, v24
	ds_store_b128 v204, v[112:115]
	ds_store_b128 v204, v[132:135] offset:64
	ds_store_b128 v204, v[124:127] offset:128
	;; [unrolled: 1-line block ×6, first 2 shown]
	v_and_b32_e32 v0, 63, v0
	global_wb scope:SCOPE_SE
	s_wait_dscnt 0x0
	s_barrier_signal -1
	s_barrier_wait -1
	global_inv scope:SCOPE_SE
	ds_load_b128 v[112:115], v206 offset:3136
	ds_load_b128 v[116:119], v206 offset:9408
	v_and_b32_e32 v158, 0xff, v24
	v_mul_lo_u16 v0, v0, 37
	ds_load_b128 v[132:135], v206 offset:12544
	v_mad_co_u64_u32 v[24:25], null, 0x60, v158, s[10:11]
	v_lshrrev_b16 v168, 8, v0
	s_delay_alu instid0(VALU_DEP_1)
	v_mul_lo_u16 v0, v168, 28
	s_clause 0x3
	global_load_b128 v[144:147], v[24:25], off offset:448
	global_load_b128 v[160:163], v[24:25], off offset:480
	;; [unrolled: 1-line block ×4, first 2 shown]
	v_sub_nc_u16 v0, v142, v0
	global_load_b128 v[140:143], v[24:25], off offset:432
	v_and_b32_e32 v159, 0xff, v0
	s_delay_alu instid0(VALU_DEP_1)
	v_mad_co_u64_u32 v[0:1], null, 0x60, v159, s[10:11]
	s_clause 0x3
	global_load_b128 v[108:111], v[0:1], off offset:416
	global_load_b128 v[120:123], v[0:1], off offset:432
	;; [unrolled: 1-line block ×4, first 2 shown]
	s_wait_loadcnt_dscnt 0x302
	v_mul_f64_e32 v[2:3], v[114:115], v[110:111]
	v_mul_f64_e32 v[4:5], v[112:113], v[110:111]
	s_delay_alu instid0(VALU_DEP_2) | instskip(NEXT) | instid1(VALU_DEP_2)
	v_fma_f64 v[2:3], v[112:113], v[108:109], -v[2:3]
	v_fma_f64 v[4:5], v[114:115], v[108:109], v[4:5]
	ds_load_b128 v[112:115], v206 offset:6272
	s_wait_loadcnt_dscnt 0x200
	v_mul_f64_e32 v[6:7], v[114:115], v[122:123]
	v_mul_f64_e32 v[8:9], v[112:113], v[122:123]
	s_delay_alu instid0(VALU_DEP_2) | instskip(NEXT) | instid1(VALU_DEP_2)
	v_fma_f64 v[6:7], v[112:113], v[120:121], -v[6:7]
	v_fma_f64 v[8:9], v[114:115], v[120:121], v[8:9]
	ds_load_b128 v[112:115], v206 offset:18816
	;; [unrolled: 7-line block ×3, first 2 shown]
	s_wait_loadcnt_dscnt 0x0
	v_mul_f64_e32 v[14:15], v[114:115], v[130:131]
	v_mul_f64_e32 v[16:17], v[112:113], v[130:131]
	v_add_f64_e32 v[177:178], v[2:3], v[10:11]
	v_add_f64_e32 v[181:182], v[4:5], v[12:13]
	v_add_f64_e64 v[2:3], v[2:3], -v[10:11]
	v_add_f64_e64 v[4:5], v[4:5], -v[12:13]
	v_fma_f64 v[14:15], v[112:113], v[128:129], -v[14:15]
	v_fma_f64 v[16:17], v[114:115], v[128:129], v[16:17]
	global_load_b128 v[112:115], v[0:1], off offset:448
	v_add_f64_e32 v[169:170], v[6:7], v[14:15]
	v_add_f64_e32 v[173:174], v[8:9], v[16:17]
	v_add_f64_e64 v[6:7], v[6:7], -v[14:15]
	v_add_f64_e64 v[8:9], v[8:9], -v[16:17]
	s_delay_alu instid0(VALU_DEP_4) | instskip(NEXT) | instid1(VALU_DEP_4)
	v_add_f64_e64 v[12:13], v[169:170], -v[177:178]
	v_add_f64_e64 v[16:17], v[173:174], -v[181:182]
	s_wait_loadcnt 0x0
	v_mul_f64_e32 v[18:19], v[118:119], v[114:115]
	v_mul_f64_e32 v[20:21], v[116:117], v[114:115]
	s_delay_alu instid0(VALU_DEP_2) | instskip(NEXT) | instid1(VALU_DEP_2)
	v_fma_f64 v[18:19], v[116:117], v[112:113], -v[18:19]
	v_fma_f64 v[20:21], v[118:119], v[112:113], v[20:21]
	global_load_b128 v[116:119], v[0:1], off offset:464
	s_wait_loadcnt 0x0
	v_mul_f64_e32 v[0:1], v[134:135], v[118:119]
	v_mul_f64_e32 v[22:23], v[132:133], v[118:119]
	s_delay_alu instid0(VALU_DEP_2) | instskip(NEXT) | instid1(VALU_DEP_2)
	v_fma_f64 v[0:1], v[132:133], v[116:117], -v[0:1]
	v_fma_f64 v[22:23], v[134:135], v[116:117], v[22:23]
	ds_load_b128 v[132:135], v206 offset:4704
	s_wait_dscnt 0x0
	v_mul_f64_e32 v[26:27], v[134:135], v[138:139]
	v_mul_f64_e32 v[28:29], v[132:133], v[138:139]
	v_add_f64_e32 v[179:180], v[18:19], v[0:1]
	v_add_f64_e32 v[183:184], v[20:21], v[22:23]
	v_add_f64_e64 v[0:1], v[0:1], -v[18:19]
	v_add_f64_e64 v[10:11], v[22:23], -v[20:21]
	v_fma_f64 v[26:27], v[132:133], v[136:137], -v[26:27]
	v_fma_f64 v[28:29], v[134:135], v[136:137], v[28:29]
	ds_load_b128 v[132:135], v206 offset:7840
	v_add_f64_e64 v[14:15], v[179:180], -v[169:170]
	v_add_f64_e64 v[18:19], v[183:184], -v[173:174]
	;; [unrolled: 1-line block ×3, first 2 shown]
	v_add_f64_e32 v[20:21], v[0:1], v[6:7]
	v_add_f64_e64 v[6:7], v[6:7], -v[2:3]
	v_add_f64_e64 v[0:1], v[2:3], -v[0:1]
	s_wait_dscnt 0x0
	v_mul_f64_e32 v[30:31], v[134:135], v[142:143]
	v_mul_f64_e32 v[22:23], s[22:23], v[22:23]
	v_add_f64_e32 v[20:21], v[20:21], v[2:3]
	v_add_f64_e64 v[2:3], v[4:5], -v[10:11]
	s_delay_alu instid0(VALU_DEP_4) | instskip(SKIP_2) | instid1(VALU_DEP_2)
	v_fma_f64 v[30:31], v[132:133], v[140:141], -v[30:31]
	v_mul_f64_e32 v[132:133], v[132:133], v[142:143]
	v_fma_f64 v[189:190], v[6:7], s[14:15], -v[22:23]
	v_fma_f64 v[193:194], v[134:135], v[140:141], v[132:133]
	ds_load_b128 v[132:135], v206 offset:10976
	s_wait_dscnt 0x0
	v_mul_f64_e32 v[148:149], v[134:135], v[146:147]
	v_fma_f64 v[189:190], v[20:21], s[24:25], v[189:190]
	s_delay_alu instid0(VALU_DEP_2) | instskip(SKIP_2) | instid1(VALU_DEP_1)
	v_fma_f64 v[195:196], v[132:133], v[144:145], -v[148:149]
	global_load_b128 v[148:151], v[24:25], off offset:464
	v_mul_f64_e32 v[132:133], v[132:133], v[146:147]
	v_fma_f64 v[197:198], v[134:135], v[144:145], v[132:133]
	ds_load_b128 v[132:135], v206 offset:14112
	s_wait_loadcnt_dscnt 0x0
	v_mul_f64_e32 v[152:153], v[134:135], v[150:151]
	s_delay_alu instid0(VALU_DEP_1) | instskip(SKIP_1) | instid1(VALU_DEP_2)
	v_fma_f64 v[199:200], v[132:133], v[148:149], -v[152:153]
	v_mul_f64_e32 v[132:133], v[132:133], v[150:151]
	v_add_f64_e32 v[230:231], v[195:196], v[199:200]
	s_delay_alu instid0(VALU_DEP_2) | instskip(SKIP_4) | instid1(VALU_DEP_2)
	v_fma_f64 v[201:202], v[134:135], v[148:149], v[132:133]
	ds_load_b128 v[132:135], v206 offset:17248
	s_wait_dscnt 0x0
	v_mul_f64_e32 v[152:153], v[134:135], v[162:163]
	v_add_f64_e32 v[238:239], v[197:198], v[201:202]
	v_fma_f64 v[208:209], v[132:133], v[160:161], -v[152:153]
	v_mul_f64_e32 v[132:133], v[132:133], v[162:163]
	s_delay_alu instid0(VALU_DEP_2) | instskip(NEXT) | instid1(VALU_DEP_2)
	v_add_f64_e32 v[228:229], v[30:31], v[208:209]
	v_fma_f64 v[210:211], v[134:135], v[160:161], v[132:133]
	ds_load_b128 v[132:135], v206 offset:20384
	s_wait_dscnt 0x0
	v_mul_f64_e32 v[24:25], v[134:135], v[166:167]
	v_add_f64_e32 v[236:237], v[193:194], v[210:211]
	s_delay_alu instid0(VALU_DEP_2) | instskip(SKIP_1) | instid1(VALU_DEP_2)
	v_fma_f64 v[24:25], v[132:133], v[164:165], -v[24:25]
	v_mul_f64_e32 v[132:133], v[132:133], v[166:167]
	v_add_f64_e32 v[226:227], v[26:27], v[24:25]
	s_delay_alu instid0(VALU_DEP_2)
	v_fma_f64 v[224:225], v[134:135], v[164:165], v[132:133]
	v_add_f64_e32 v[132:133], v[169:170], v[177:178]
	v_add_f64_e32 v[169:170], v[10:11], v[8:9]
	v_add_f64_e64 v[177:178], v[177:178], -v[179:180]
	v_add_f64_e32 v[152:153], v[228:229], v[226:227]
	v_add_f64_e32 v[234:235], v[28:29], v[224:225]
	;; [unrolled: 1-line block ×4, first 2 shown]
	v_add_f64_e64 v[173:174], v[10:11], -v[8:9]
	v_add_f64_e64 v[8:9], v[8:9], -v[4:5]
	;; [unrolled: 1-line block ×3, first 2 shown]
	v_add_f64_e32 v[185:186], v[169:170], v[4:5]
	v_mul_f64_e32 v[169:170], s[12:13], v[14:15]
	v_mul_f64_e32 v[4:5], s[16:17], v[6:7]
	v_add_f64_e32 v[232:233], v[230:231], v[152:153]
	v_add_f64_e32 v[152:153], v[236:237], v[234:235]
	;; [unrolled: 1-line block ×3, first 2 shown]
	ds_load_b128 v[132:135], v206
	v_mul_f64_e32 v[187:188], s[22:23], v[173:174]
	v_mul_f64_e32 v[173:174], s[12:13], v[18:19]
	;; [unrolled: 1-line block ×4, first 2 shown]
	v_fma_f64 v[169:170], v[12:13], s[20:21], -v[169:170]
	v_fma_f64 v[4:5], v[0:1], s[26:27], v[4:5]
	v_fma_f64 v[0:1], v[0:1], s[34:35], v[22:23]
	v_add_f64_e32 v[240:241], v[238:239], v[152:153]
	ds_load_b128 v[152:155], v206 offset:1568
	s_wait_dscnt 0x1
	v_add_f64_e32 v[132:133], v[132:133], v[171:172]
	v_add_f64_e32 v[134:135], v[134:135], v[175:176]
	global_wb scope:SCOPE_SE
	s_wait_dscnt 0x0
	v_fma_f64 v[173:174], v[16:17], s[20:21], -v[173:174]
	v_fma_f64 v[6:7], v[2:3], s[26:27], v[6:7]
	v_fma_f64 v[16:17], v[16:17], s[30:31], -v[10:11]
	v_fma_f64 v[2:3], v[2:3], s[34:35], v[187:188]
	v_fma_f64 v[4:5], v[20:21], s[24:25], v[4:5]
	v_fma_f64 v[0:1], v[20:21], s[24:25], v[0:1]
	s_barrier_signal -1
	s_barrier_wait -1
	global_inv scope:SCOPE_SE
	v_add_f64_e32 v[152:153], v[152:153], v[232:233]
	v_add_f64_e32 v[154:155], v[154:155], v[240:241]
	v_fma_f64 v[191:192], v[171:172], s[18:19], v[132:133]
	v_fma_f64 v[171:172], v[8:9], s[14:15], -v[187:188]
	v_mul_f64_e32 v[8:9], s[28:29], v[177:178]
	v_fma_f64 v[242:243], v[175:176], s[18:19], v[134:135]
	v_fma_f64 v[6:7], v[185:186], s[24:25], v[6:7]
	;; [unrolled: 1-line block ×3, first 2 shown]
	v_add_f64_e32 v[244:245], v[169:170], v[191:192]
	v_fma_f64 v[175:176], v[185:186], s[24:25], v[171:172]
	v_fma_f64 v[12:13], v[12:13], s[30:31], -v[8:9]
	v_add_f64_e32 v[16:17], v[16:17], v[242:243]
	v_add_f64_e32 v[246:247], v[173:174], v[242:243]
	s_delay_alu instid0(VALU_DEP_4) | instskip(NEXT) | instid1(VALU_DEP_4)
	v_add_f64_e64 v[169:170], v[244:245], -v[175:176]
	v_add_f64_e32 v[12:13], v[12:13], v[191:192]
	s_delay_alu instid0(VALU_DEP_4)
	v_add_f64_e64 v[179:180], v[16:17], -v[4:5]
	v_add_f64_e32 v[183:184], v[4:5], v[16:17]
	v_fma_f64 v[4:5], v[14:15], s[12:13], v[8:9]
	v_add_f64_e32 v[171:172], v[189:190], v[246:247]
	v_add_f64_e32 v[173:174], v[175:176], v[244:245]
	v_add_f64_e64 v[175:176], v[246:247], -v[189:190]
	v_add_f64_e64 v[8:9], v[201:202], -v[197:198]
	;; [unrolled: 1-line block ×4, first 2 shown]
	v_fma_f64 v[201:202], v[232:233], s[18:19], v[152:153]
	v_add_f64_e32 v[177:178], v[6:7], v[12:13]
	v_add_f64_e64 v[181:182], v[12:13], -v[6:7]
	v_fma_f64 v[6:7], v[18:19], s[12:13], v[10:11]
	v_add_f64_e32 v[4:5], v[4:5], v[191:192]
	v_add_f64_e64 v[10:11], v[28:29], -v[224:225]
	v_add_f64_e64 v[18:19], v[238:239], -v[236:237]
	;; [unrolled: 1-line block ×3, first 2 shown]
	v_mul_f64_e32 v[28:29], s[12:13], v[14:15]
	v_add_f64_e32 v[6:7], v[6:7], v[242:243]
	v_add_f64_e32 v[185:186], v[2:3], v[4:5]
	v_add_f64_e64 v[189:190], v[4:5], -v[2:3]
	v_add_f64_e64 v[2:3], v[199:200], -v[195:196]
	;; [unrolled: 1-line block ×3, first 2 shown]
	v_fma_f64 v[28:29], v[12:13], s[20:21], -v[28:29]
	v_add_f64_e64 v[187:188], v[6:7], -v[0:1]
	v_add_f64_e32 v[191:192], v[0:1], v[6:7]
	v_add_f64_e64 v[0:1], v[30:31], -v[208:209]
	v_add_f64_e64 v[6:7], v[193:194], -v[210:211]
	v_mul_f64_e32 v[30:31], s[12:13], v[18:19]
	v_fma_f64 v[208:209], v[240:241], s[18:19], v[154:155]
	v_add_f64_e32 v[28:29], v[28:29], v[201:202]
	v_add_f64_e64 v[22:23], v[2:3], -v[0:1]
	v_add_f64_e32 v[20:21], v[2:3], v[0:1]
	v_add_f64_e64 v[0:1], v[0:1], -v[4:5]
	v_add_f64_e64 v[26:27], v[8:9], -v[6:7]
	v_add_f64_e32 v[24:25], v[8:9], v[6:7]
	v_add_f64_e64 v[6:7], v[6:7], -v[10:11]
	v_fma_f64 v[30:31], v[16:17], s[20:21], -v[30:31]
	v_add_f64_e64 v[2:3], v[4:5], -v[2:3]
	v_mul_f64_e32 v[22:23], s[22:23], v[22:23]
	v_add_f64_e32 v[20:21], v[20:21], v[4:5]
	v_add_f64_e64 v[4:5], v[10:11], -v[8:9]
	v_mul_f64_e32 v[26:27], s[22:23], v[26:27]
	v_add_f64_e32 v[24:25], v[24:25], v[10:11]
	v_add_f64_e32 v[30:31], v[30:31], v[208:209]
	v_fma_f64 v[193:194], v[0:1], s[14:15], -v[22:23]
	v_mul_f64_e32 v[0:1], s[16:17], v[0:1]
	s_delay_alu instid0(VALU_DEP_2) | instskip(SKIP_2) | instid1(VALU_DEP_4)
	v_fma_f64 v[199:200], v[20:21], s[24:25], v[193:194]
	v_fma_f64 v[193:194], v[6:7], s[14:15], -v[26:27]
	v_mul_f64_e32 v[6:7], s[16:17], v[6:7]
	v_fma_f64 v[0:1], v[2:3], s[26:27], v[0:1]
	s_delay_alu instid0(VALU_DEP_4) | instskip(NEXT) | instid1(VALU_DEP_4)
	v_add_f64_e32 v[195:196], v[199:200], v[30:31]
	v_fma_f64 v[197:198], v[24:25], s[24:25], v[193:194]
	v_add_f64_e64 v[199:200], v[30:31], -v[199:200]
	v_add_f64_e64 v[30:31], v[234:235], -v[238:239]
	v_fma_f64 v[6:7], v[4:5], s[26:27], v[6:7]
	v_fma_f64 v[0:1], v[20:21], s[24:25], v[0:1]
	v_add_f64_e64 v[193:194], v[28:29], -v[197:198]
	v_add_f64_e32 v[197:198], v[197:198], v[28:29]
	v_add_f64_e64 v[28:29], v[226:227], -v[230:231]
	v_mul_f64_e32 v[10:11], s[28:29], v[30:31]
	v_fma_f64 v[6:7], v[24:25], s[24:25], v[6:7]
	s_delay_alu instid0(VALU_DEP_3) | instskip(NEXT) | instid1(VALU_DEP_3)
	v_mul_f64_e32 v[8:9], s[28:29], v[28:29]
	v_fma_f64 v[16:17], v[16:17], s[30:31], -v[10:11]
	s_delay_alu instid0(VALU_DEP_2) | instskip(NEXT) | instid1(VALU_DEP_2)
	v_fma_f64 v[12:13], v[12:13], s[30:31], -v[8:9]
	v_add_f64_e32 v[16:17], v[16:17], v[208:209]
	s_delay_alu instid0(VALU_DEP_2) | instskip(NEXT) | instid1(VALU_DEP_2)
	v_add_f64_e32 v[12:13], v[12:13], v[201:202]
	v_add_f64_e64 v[228:229], v[16:17], -v[0:1]
	v_add_f64_e32 v[232:233], v[0:1], v[16:17]
	v_fma_f64 v[0:1], v[2:3], s[34:35], v[22:23]
	v_fma_f64 v[2:3], v[4:5], s[34:35], v[26:27]
	;; [unrolled: 1-line block ×3, first 2 shown]
	v_add_f64_e32 v[226:227], v[6:7], v[12:13]
	v_add_f64_e64 v[230:231], v[12:13], -v[6:7]
	v_fma_f64 v[6:7], v[18:19], s[12:13], v[10:11]
	v_fma_f64 v[0:1], v[20:21], s[24:25], v[0:1]
	;; [unrolled: 1-line block ×3, first 2 shown]
	v_add_f64_e32 v[4:5], v[4:5], v[201:202]
	s_delay_alu instid0(VALU_DEP_4) | instskip(NEXT) | instid1(VALU_DEP_2)
	v_add_f64_e32 v[6:7], v[6:7], v[208:209]
	v_add_f64_e32 v[234:235], v[2:3], v[4:5]
	v_add_f64_e64 v[238:239], v[4:5], -v[2:3]
	s_delay_alu instid0(VALU_DEP_3) | instskip(SKIP_2) | instid1(VALU_DEP_1)
	v_add_f64_e64 v[236:237], v[6:7], -v[0:1]
	v_add_f64_e32 v[240:241], v[0:1], v[6:7]
	v_and_b32_e32 v0, 0xffff, v168
	v_mul_u32_u24_e32 v0, 0xc4, v0
	s_delay_alu instid0(VALU_DEP_1) | instskip(NEXT) | instid1(VALU_DEP_1)
	v_add_nc_u32_e32 v0, v0, v159
	v_lshl_add_u32 v225, v0, 4, v156
	v_and_b32_e32 v0, 0xffff, v157
	ds_store_b128 v225, v[132:135]
	ds_store_b128 v225, v[185:188] offset:448
	ds_store_b128 v225, v[177:180] offset:896
	;; [unrolled: 1-line block ×6, first 2 shown]
	v_mul_u32_u24_e32 v0, 0xc4, v0
	s_delay_alu instid0(VALU_DEP_1) | instskip(NEXT) | instid1(VALU_DEP_1)
	v_add_nc_u32_e32 v0, v0, v158
	v_lshl_add_u32 v224, v0, 4, v156
	v_mad_co_u64_u32 v[0:1], null, 0x60, v32, s[10:11]
	ds_store_b128 v224, v[152:155]
	ds_store_b128 v224, v[234:237] offset:448
	ds_store_b128 v224, v[226:229] offset:896
	;; [unrolled: 1-line block ×6, first 2 shown]
	global_wb scope:SCOPE_SE
	s_wait_dscnt 0x0
	s_barrier_signal -1
	s_barrier_wait -1
	global_inv scope:SCOPE_SE
	ds_load_b128 v[152:155], v206 offset:3136
	ds_load_b128 v[156:159], v206 offset:9408
	;; [unrolled: 1-line block ×4, first 2 shown]
	s_clause 0x1
	global_load_b128 v[132:135], v[0:1], off offset:3104
	global_load_b128 v[168:171], v[0:1], off offset:3120
	ds_load_b128 v[172:175], v206 offset:12544
	s_clause 0x1
	global_load_b128 v[188:191], v[0:1], off offset:12512
	global_load_b128 v[192:195], v[0:1], off offset:12528
	ds_load_b128 v[184:187], v206 offset:10976
	ds_load_b128 v[230:233], v206 offset:1568
	s_wait_loadcnt_dscnt 0x306
	v_mul_f64_e32 v[2:3], v[154:155], v[134:135]
	v_mul_f64_e32 v[4:5], v[152:153], v[134:135]
	s_delay_alu instid0(VALU_DEP_2) | instskip(NEXT) | instid1(VALU_DEP_2)
	v_fma_f64 v[210:211], v[152:153], v[132:133], -v[2:3]
	v_fma_f64 v[208:209], v[154:155], v[132:133], v[4:5]
	ds_load_b128 v[152:155], v206 offset:6272
	s_wait_loadcnt_dscnt 0x200
	v_mul_f64_e32 v[6:7], v[154:155], v[170:171]
	v_mul_f64_e32 v[8:9], v[152:153], v[170:171]
	s_delay_alu instid0(VALU_DEP_2) | instskip(NEXT) | instid1(VALU_DEP_2)
	v_fma_f64 v[236:237], v[152:153], v[168:169], -v[6:7]
	v_fma_f64 v[234:235], v[154:155], v[168:169], v[8:9]
	global_load_b128 v[152:155], v[0:1], off offset:3136
	s_wait_loadcnt 0x0
	v_mul_f64_e32 v[10:11], v[158:159], v[154:155]
	v_mul_f64_e32 v[12:13], v[156:157], v[154:155]
	s_delay_alu instid0(VALU_DEP_2) | instskip(NEXT) | instid1(VALU_DEP_2)
	v_fma_f64 v[240:241], v[156:157], v[152:153], -v[10:11]
	v_fma_f64 v[238:239], v[158:159], v[152:153], v[12:13]
	global_load_b128 v[156:159], v[0:1], off offset:3152
	s_wait_loadcnt 0x0
	v_mul_f64_e32 v[14:15], v[174:175], v[158:159]
	v_mul_f64_e32 v[16:17], v[172:173], v[158:159]
	s_delay_alu instid0(VALU_DEP_2) | instskip(NEXT) | instid1(VALU_DEP_2)
	v_fma_f64 v[32:33], v[172:173], v[156:157], -v[14:15]
	v_fma_f64 v[242:243], v[174:175], v[156:157], v[16:17]
	global_load_b128 v[172:175], v[0:1], off offset:3168
	v_add_f64_e32 v[246:247], v[240:241], v[32:33]
	v_add_f64_e32 v[248:249], v[238:239], v[242:243]
	v_add_f64_e64 v[32:33], v[32:33], -v[240:241]
	s_wait_loadcnt 0x0
	v_mul_f64_e32 v[18:19], v[178:179], v[174:175]
	v_mul_f64_e32 v[20:21], v[176:177], v[174:175]
	s_delay_alu instid0(VALU_DEP_2) | instskip(NEXT) | instid1(VALU_DEP_2)
	v_fma_f64 v[18:19], v[176:177], v[172:173], -v[18:19]
	v_fma_f64 v[20:21], v[178:179], v[172:173], v[20:21]
	global_load_b128 v[176:179], v[0:1], off offset:3184
	v_add_f64_e32 v[244:245], v[236:237], v[18:19]
	v_add_f64_e32 v[252:253], v[234:235], v[20:21]
	v_add_f64_e64 v[18:19], v[236:237], -v[18:19]
	v_add_f64_e64 v[20:21], v[234:235], -v[20:21]
	s_delay_alu instid0(VALU_DEP_2) | instskip(SKIP_1) | instid1(VALU_DEP_2)
	v_add_f64_e64 v[236:237], v[32:33], -v[18:19]
	v_add_f64_e32 v[234:235], v[32:33], v[18:19]
	v_mul_f64_e32 v[8:9], s[22:23], v[236:237]
	s_wait_loadcnt 0x0
	v_mul_f64_e32 v[22:23], v[182:183], v[178:179]
	v_mul_f64_e32 v[24:25], v[180:181], v[178:179]
	s_delay_alu instid0(VALU_DEP_2) | instskip(NEXT) | instid1(VALU_DEP_2)
	v_fma_f64 v[22:23], v[180:181], v[176:177], -v[22:23]
	v_fma_f64 v[24:25], v[182:183], v[176:177], v[24:25]
	ds_load_b128 v[180:183], v206 offset:4704
	s_wait_dscnt 0x0
	v_mul_f64_e32 v[26:27], v[182:183], v[190:191]
	v_mul_f64_e32 v[28:29], v[180:181], v[190:191]
	v_add_f64_e32 v[34:35], v[210:211], v[22:23]
	v_add_f64_e32 v[250:251], v[208:209], v[24:25]
	v_add_f64_e64 v[22:23], v[210:211], -v[22:23]
	v_add_f64_e64 v[210:211], v[242:243], -v[238:239]
	;; [unrolled: 1-line block ×4, first 2 shown]
	v_fma_f64 v[68:69], v[180:181], v[188:189], -v[26:27]
	v_fma_f64 v[70:71], v[182:183], v[188:189], v[28:29]
	ds_load_b128 v[180:183], v206 offset:7840
	v_add_f64_e64 v[208:209], v[244:245], -v[34:35]
	v_add_f64_e32 v[38:39], v[252:253], v[250:251]
	v_add_f64_e64 v[18:19], v[18:19], -v[22:23]
	v_add_f64_e32 v[238:239], v[210:211], v[20:21]
	;; [unrolled: 2-line block ×3, first 2 shown]
	s_wait_dscnt 0x0
	v_mul_f64_e32 v[30:31], v[182:183], v[194:195]
	v_add_f64_e64 v[20:21], v[20:21], -v[24:25]
	v_mul_f64_e32 v[234:235], s[12:13], v[242:243]
	v_add_f64_e64 v[22:23], v[22:23], -v[32:33]
	v_add_f64_e32 v[38:39], v[248:249], v[38:39]
	v_add_f64_e32 v[62:63], v[238:239], v[24:25]
	v_fma_f64 v[238:239], v[18:19], s[14:15], -v[8:9]
	v_mul_f64_e32 v[66:67], s[22:23], v[240:241]
	v_fma_f64 v[60:61], v[180:181], v[192:193], -v[30:31]
	v_mul_f64_e32 v[180:181], v[180:181], v[194:195]
	;; [unrolled: 2-line block ×3, first 2 shown]
	v_add_f64_e64 v[24:25], v[24:25], -v[210:211]
	v_fma_f64 v[8:9], v[22:23], s[34:35], v[8:9]
	v_fma_f64 v[240:241], v[6:7], s[24:25], v[238:239]
	v_fma_f64 v[238:239], v[20:21], s[14:15], -v[66:67]
	v_mul_f64_e32 v[20:21], s[16:17], v[20:21]
	v_fma_f64 v[64:65], v[182:183], v[192:193], v[180:181]
	global_load_b128 v[180:183], v[0:1], off offset:12544
	v_fma_f64 v[18:19], v[22:23], s[26:27], v[18:19]
	v_fma_f64 v[238:239], v[62:63], s[24:25], v[238:239]
	;; [unrolled: 1-line block ×3, first 2 shown]
	s_delay_alu instid0(VALU_DEP_3) | instskip(SKIP_1) | instid1(VALU_DEP_3)
	v_fma_f64 v[18:19], v[6:7], s[24:25], v[18:19]
	v_fma_f64 v[6:7], v[6:7], s[24:25], v[8:9]
	;; [unrolled: 1-line block ×3, first 2 shown]
	s_wait_loadcnt 0x0
	v_mul_f64_e32 v[196:197], v[186:187], v[182:183]
	s_delay_alu instid0(VALU_DEP_1)
	v_fma_f64 v[48:49], v[184:185], v[180:181], -v[196:197]
	v_mul_f64_e32 v[184:185], v[184:185], v[182:183]
	ds_load_b128 v[196:199], v206 offset:14112
	v_fma_f64 v[52:53], v[186:187], v[180:181], v[184:185]
	global_load_b128 v[184:187], v[0:1], off offset:12560
	s_wait_loadcnt_dscnt 0x0
	v_mul_f64_e32 v[200:201], v[198:199], v[186:187]
	s_delay_alu instid0(VALU_DEP_1)
	v_fma_f64 v[40:41], v[196:197], v[184:185], -v[200:201]
	v_mul_f64_e32 v[196:197], v[196:197], v[186:187]
	ds_load_b128 v[200:203], v206 offset:17248
	v_add_f64_e32 v[14:15], v[48:49], v[40:41]
	v_fma_f64 v[44:45], v[198:199], v[184:185], v[196:197]
	global_load_b128 v[196:199], v[0:1], off offset:12576
	v_add_f64_e32 v[10:11], v[52:53], v[44:45]
	s_wait_loadcnt_dscnt 0x0
	v_mul_f64_e32 v[226:227], v[202:203], v[198:199]
	s_delay_alu instid0(VALU_DEP_1)
	v_fma_f64 v[30:31], v[200:201], v[196:197], -v[226:227]
	v_mul_f64_e32 v[200:201], v[200:201], v[198:199]
	ds_load_b128 v[226:229], v206 offset:20384
	v_add_f64_e32 v[42:43], v[60:61], v[30:31]
	v_fma_f64 v[36:37], v[202:203], v[196:197], v[200:201]
	global_load_b128 v[200:203], v[0:1], off offset:12592
	v_add_f64_e32 v[50:51], v[64:65], v[36:37]
	s_wait_loadcnt_dscnt 0x0
	v_mul_f64_e32 v[0:1], v[228:229], v[202:203]
	s_delay_alu instid0(VALU_DEP_1) | instskip(SKIP_1) | instid1(VALU_DEP_2)
	v_fma_f64 v[16:17], v[226:227], v[200:201], -v[0:1]
	v_mul_f64_e32 v[226:227], v[226:227], v[202:203]
	v_add_f64_e32 v[26:27], v[68:69], v[16:17]
	s_delay_alu instid0(VALU_DEP_2)
	v_fma_f64 v[28:29], v[228:229], v[200:201], v[226:227]
	v_add_f64_e32 v[226:227], v[244:245], v[34:35]
	v_add_f64_e64 v[244:245], v[252:253], -v[250:251]
	v_add_f64_e64 v[252:253], v[248:249], -v[252:253]
	v_add_f64_e32 v[46:47], v[42:43], v[26:27]
	v_add_f64_e32 v[12:13], v[70:71], v[28:29]
	v_add_f64_e32 v[0:1], v[246:247], v[226:227]
	ds_load_b128 v[226:229], v206
	v_mul_f64_e32 v[236:237], s[12:13], v[252:253]
	s_wait_dscnt 0x0
	v_add_f64_e32 v[228:229], v[228:229], v[38:39]
	v_add_f64_e32 v[46:47], v[14:15], v[46:47]
	;; [unrolled: 1-line block ×4, first 2 shown]
	v_fma_f64 v[236:237], v[244:245], s[20:21], -v[236:237]
	v_fma_f64 v[38:39], v[38:39], s[18:19], v[228:229]
	v_add_f64_e32 v[230:231], v[230:231], v[46:47]
	v_add_f64_e32 v[54:55], v[10:11], v[54:55]
	v_fma_f64 v[4:5], v[0:1], s[18:19], v[226:227]
	s_delay_alu instid0(VALU_DEP_4) | instskip(NEXT) | instid1(VALU_DEP_4)
	v_add_f64_e32 v[2:3], v[236:237], v[38:39]
	v_fma_f64 v[46:47], v[46:47], s[18:19], v[230:231]
	s_delay_alu instid0(VALU_DEP_4) | instskip(NEXT) | instid1(VALU_DEP_4)
	v_add_f64_e32 v[232:233], v[232:233], v[54:55]
	v_add_f64_e32 v[0:1], v[234:235], v[4:5]
	s_delay_alu instid0(VALU_DEP_4) | instskip(SKIP_2) | instid1(VALU_DEP_4)
	v_add_f64_e32 v[236:237], v[240:241], v[2:3]
	v_add_f64_e64 v[240:241], v[2:3], -v[240:241]
	v_add_f64_e64 v[2:3], v[250:251], -v[248:249]
	v_add_f64_e64 v[234:235], v[0:1], -v[238:239]
	v_add_f64_e32 v[238:239], v[238:239], v[0:1]
	v_add_f64_e64 v[0:1], v[34:35], -v[246:247]
	s_delay_alu instid0(VALU_DEP_4) | instskip(NEXT) | instid1(VALU_DEP_2)
	v_mul_f64_e32 v[2:3], s[28:29], v[2:3]
	v_mul_f64_e32 v[0:1], s[28:29], v[0:1]
	s_delay_alu instid0(VALU_DEP_2) | instskip(SKIP_1) | instid1(VALU_DEP_3)
	v_fma_f64 v[34:35], v[244:245], s[30:31], -v[2:3]
	v_fma_f64 v[2:3], v[252:253], s[12:13], v[2:3]
	v_fma_f64 v[32:33], v[208:209], s[30:31], -v[0:1]
	v_fma_f64 v[0:1], v[242:243], s[12:13], v[0:1]
	s_delay_alu instid0(VALU_DEP_4) | instskip(NEXT) | instid1(VALU_DEP_4)
	v_add_f64_e32 v[210:211], v[34:35], v[38:39]
	v_add_f64_e32 v[2:3], v[2:3], v[38:39]
	v_add_f64_e64 v[38:39], v[10:11], -v[50:51]
	v_add_f64_e64 v[10:11], v[12:13], -v[10:11]
	v_add_f64_e32 v[208:209], v[32:33], v[4:5]
	v_add_f64_e32 v[0:1], v[0:1], v[4:5]
	v_add_f64_e64 v[4:5], v[68:69], -v[16:17]
	v_add_f64_e64 v[34:35], v[210:211], -v[18:19]
	v_add_f64_e32 v[248:249], v[18:19], v[210:211]
	v_fma_f64 v[18:19], v[24:25], s[34:35], v[66:67]
	v_add_f64_e64 v[252:253], v[2:3], -v[6:7]
	v_add_f64_e32 v[210:211], v[6:7], v[2:3]
	v_add_f64_e64 v[2:3], v[40:41], -v[48:49]
	v_add_f64_e64 v[6:7], v[64:65], -v[36:37]
	;; [unrolled: 1-line block ×5, first 2 shown]
	v_mul_f64_e32 v[10:11], s[28:29], v[10:11]
	v_fma_f64 v[50:51], v[54:55], s[18:19], v[232:233]
	v_add_f64_e32 v[32:33], v[20:21], v[208:209]
	v_add_f64_e64 v[246:247], v[208:209], -v[20:21]
	v_fma_f64 v[8:9], v[62:63], s[24:25], v[18:19]
	v_fma_f64 v[12:13], v[36:37], s[30:31], -v[10:11]
	v_fma_f64 v[10:11], v[38:39], s[12:13], v[10:11]
	s_delay_alu instid0(VALU_DEP_3)
	v_add_f64_e32 v[250:251], v[8:9], v[0:1]
	v_add_f64_e64 v[208:209], v[0:1], -v[8:9]
	v_add_f64_e64 v[0:1], v[60:61], -v[30:31]
	;; [unrolled: 1-line block ×5, first 2 shown]
	v_add_f64_e32 v[10:11], v[10:11], v[50:51]
	v_add_f64_e64 v[18:19], v[2:3], -v[0:1]
	v_add_f64_e32 v[16:17], v[2:3], v[0:1]
	v_add_f64_e64 v[0:1], v[0:1], -v[4:5]
	;; [unrolled: 2-line block ×3, first 2 shown]
	v_add_f64_e64 v[6:7], v[6:7], -v[24:25]
	v_add_f64_e64 v[2:3], v[4:5], -v[2:3]
	;; [unrolled: 1-line block ×3, first 2 shown]
	v_mul_f64_e32 v[44:45], s[22:23], v[18:19]
	v_add_f64_e32 v[40:41], v[16:17], v[4:5]
	v_mul_f64_e32 v[16:17], s[12:13], v[30:31]
	v_add_f64_e32 v[42:43], v[20:21], v[24:25]
	v_mul_f64_e32 v[48:49], s[22:23], v[22:23]
	v_mul_f64_e32 v[4:5], s[16:17], v[6:7]
	;; [unrolled: 1-line block ×4, first 2 shown]
	s_mov_b32 s23, 0x3fe11646
	v_fma_f64 v[20:21], v[0:1], s[14:15], -v[44:45]
	v_mul_f64_e32 v[0:1], s[16:17], v[0:1]
	v_fma_f64 v[16:17], v[28:29], s[20:21], -v[16:17]
	v_fma_f64 v[4:5], v[8:9], s[26:27], v[4:5]
	v_fma_f64 v[18:19], v[36:37], s[20:21], -v[18:19]
	v_fma_f64 v[22:23], v[40:41], s[24:25], v[20:21]
	;; [unrolled: 2-line block ×3, first 2 shown]
	v_fma_f64 v[6:7], v[28:29], s[30:31], -v[24:25]
	v_add_f64_e32 v[28:29], v[12:13], v[50:51]
	v_fma_f64 v[14:15], v[42:43], s[24:25], v[4:5]
	v_add_f64_e32 v[52:53], v[16:17], v[46:47]
	v_add_f64_e32 v[54:55], v[18:19], v[50:51]
	v_fma_f64 v[20:21], v[42:43], s[24:25], v[20:21]
	v_fma_f64 v[0:1], v[40:41], s[24:25], v[0:1]
	v_add_f64_e32 v[26:27], v[6:7], v[46:47]
	s_delay_alu instid0(VALU_DEP_4)
	v_add_f64_e32 v[18:19], v[22:23], v[54:55]
	v_add_f64_e64 v[22:23], v[54:55], -v[22:23]
	v_add_f64_e64 v[16:17], v[52:53], -v[20:21]
	;; [unrolled: 1-line block ×3, first 2 shown]
	v_add_f64_e32 v[4:5], v[14:15], v[26:27]
	v_add_f64_e64 v[12:13], v[26:27], -v[14:15]
	v_add_f64_e32 v[14:15], v[0:1], v[28:29]
	v_fma_f64 v[0:1], v[2:3], s[34:35], v[44:45]
	v_fma_f64 v[2:3], v[8:9], s[34:35], v[48:49]
	;; [unrolled: 1-line block ×3, first 2 shown]
	v_add_f64_e32 v[20:21], v[20:21], v[52:53]
	s_delay_alu instid0(VALU_DEP_4) | instskip(NEXT) | instid1(VALU_DEP_4)
	v_fma_f64 v[24:25], v[40:41], s[24:25], v[0:1]
	v_fma_f64 v[26:27], v[42:43], s[24:25], v[2:3]
	s_delay_alu instid0(VALU_DEP_4) | instskip(SKIP_1) | instid1(VALU_DEP_3)
	v_add_f64_e32 v[8:9], v[8:9], v[46:47]
	s_mov_b32 s25, 0xbfdc38aa
	v_add_f64_e64 v[2:3], v[10:11], -v[24:25]
	v_add_f64_e32 v[10:11], v[24:25], v[10:11]
	s_delay_alu instid0(VALU_DEP_3)
	v_add_f64_e32 v[0:1], v[26:27], v[8:9]
	v_add_f64_e64 v[8:9], v[8:9], -v[26:27]
	ds_store_b128 v206, v[226:229]
	ds_store_b128 v206, v[230:233] offset:1568
	ds_store_b128 v206, v[250:253] offset:3136
	;; [unrolled: 1-line block ×13, first 2 shown]
	global_wb scope:SCOPE_SE
	s_wait_dscnt 0x0
	s_barrier_signal -1
	s_barrier_wait -1
	global_inv scope:SCOPE_SE
	global_load_b128 v[0:3], v207, s[8:9] offset:21952
	ds_load_b128 v[4:7], v206
	ds_load_b128 v[16:19], v206 offset:1568
	s_add_nc_u64 s[8:9], s[8:9], 0x55c0
	ds_load_b128 v[10:13], v206 offset:10976
	ds_load_b128 v[208:211], v206 offset:12544
	;; [unrolled: 1-line block ×9, first 2 shown]
	s_wait_loadcnt_dscnt 0xa
	v_mul_f64_e32 v[8:9], v[6:7], v[2:3]
	v_mul_f64_e32 v[2:3], v[4:5], v[2:3]
	s_delay_alu instid0(VALU_DEP_2) | instskip(NEXT) | instid1(VALU_DEP_2)
	v_fma_f64 v[24:25], v[4:5], v[0:1], -v[8:9]
	v_fma_f64 v[26:27], v[6:7], v[0:1], v[2:3]
	global_load_b128 v[6:9], v207, s[8:9] offset:10976
	s_wait_loadcnt_dscnt 0x8
	v_mul_f64_e32 v[2:3], v[10:11], v[8:9]
	v_mul_f64_e32 v[0:1], v[12:13], v[8:9]
	s_delay_alu instid0(VALU_DEP_2)
	v_fma_f64 v[30:31], v[12:13], v[6:7], v[2:3]
	global_load_b128 v[12:15], v207, s[8:9] offset:1568
	v_fma_f64 v[28:29], v[10:11], v[6:7], -v[0:1]
	s_wait_loadcnt 0x0
	v_mul_f64_e32 v[0:1], v[18:19], v[14:15]
	v_mul_f64_e32 v[2:3], v[16:17], v[14:15]
	s_delay_alu instid0(VALU_DEP_2) | instskip(NEXT) | instid1(VALU_DEP_2)
	v_fma_f64 v[14:15], v[16:17], v[12:13], -v[0:1]
	v_fma_f64 v[16:17], v[18:19], v[12:13], v[2:3]
	global_load_b128 v[18:21], v207, s[8:9] offset:12544
	s_wait_loadcnt_dscnt 0x7
	v_mul_f64_e32 v[0:1], v[210:211], v[20:21]
	v_mul_f64_e32 v[2:3], v[208:209], v[20:21]
	s_delay_alu instid0(VALU_DEP_2) | instskip(NEXT) | instid1(VALU_DEP_2)
	v_fma_f64 v[20:21], v[208:209], v[18:19], -v[0:1]
	v_fma_f64 v[22:23], v[210:211], v[18:19], v[2:3]
	global_load_b128 v[208:211], v207, s[8:9] offset:3136
	s_wait_loadcnt_dscnt 0x6
	v_mul_f64_e32 v[0:1], v[228:229], v[210:211]
	v_mul_f64_e32 v[2:3], v[226:227], v[210:211]
	s_delay_alu instid0(VALU_DEP_2) | instskip(NEXT) | instid1(VALU_DEP_2)
	v_fma_f64 v[226:227], v[226:227], v[208:209], -v[0:1]
	v_fma_f64 v[228:229], v[228:229], v[208:209], v[2:3]
	global_load_b128 v[208:211], v207, s[8:9] offset:14112
	s_wait_loadcnt_dscnt 0x4
	v_mul_f64_e32 v[0:1], v[232:233], v[210:211]
	v_mul_f64_e32 v[2:3], v[230:231], v[210:211]
	s_delay_alu instid0(VALU_DEP_2) | instskip(NEXT) | instid1(VALU_DEP_2)
	v_fma_f64 v[230:231], v[230:231], v[208:209], -v[0:1]
	v_fma_f64 v[232:233], v[232:233], v[208:209], v[2:3]
	global_load_b128 v[208:211], v207, s[8:9] offset:4704
	s_wait_loadcnt 0x0
	v_mul_f64_e32 v[0:1], v[236:237], v[210:211]
	v_mul_f64_e32 v[2:3], v[234:235], v[210:211]
	s_delay_alu instid0(VALU_DEP_2) | instskip(NEXT) | instid1(VALU_DEP_2)
	v_fma_f64 v[234:235], v[234:235], v[208:209], -v[0:1]
	v_fma_f64 v[236:237], v[236:237], v[208:209], v[2:3]
	global_load_b128 v[208:211], v207, s[8:9] offset:15680
	s_wait_loadcnt_dscnt 0x3
	v_mul_f64_e32 v[0:1], v[240:241], v[210:211]
	v_mul_f64_e32 v[2:3], v[238:239], v[210:211]
	s_delay_alu instid0(VALU_DEP_2) | instskip(NEXT) | instid1(VALU_DEP_2)
	v_fma_f64 v[238:239], v[238:239], v[208:209], -v[0:1]
	v_fma_f64 v[240:241], v[240:241], v[208:209], v[2:3]
	global_load_b128 v[208:211], v207, s[8:9] offset:6272
	s_wait_loadcnt_dscnt 0x2
	;; [unrolled: 7-line block ×3, first 2 shown]
	v_mul_f64_e32 v[0:1], v[248:249], v[210:211]
	v_mul_f64_e32 v[2:3], v[246:247], v[210:211]
	s_delay_alu instid0(VALU_DEP_2) | instskip(NEXT) | instid1(VALU_DEP_2)
	v_fma_f64 v[246:247], v[246:247], v[208:209], -v[0:1]
	v_fma_f64 v[248:249], v[248:249], v[208:209], v[2:3]
	global_load_b128 v[208:211], v207, s[8:9] offset:7840
	s_wait_loadcnt 0x0
	v_mul_f64_e32 v[0:1], v[252:253], v[210:211]
	v_mul_f64_e32 v[2:3], v[250:251], v[210:211]
	s_delay_alu instid0(VALU_DEP_2) | instskip(NEXT) | instid1(VALU_DEP_2)
	v_fma_f64 v[250:251], v[250:251], v[208:209], -v[0:1]
	v_fma_f64 v[252:253], v[252:253], v[208:209], v[2:3]
	global_load_b128 v[208:211], v207, s[8:9] offset:18816
	ds_load_b128 v[0:3], v206 offset:18816
	s_wait_loadcnt_dscnt 0x0
	v_mul_f64_e32 v[4:5], v[2:3], v[210:211]
	v_mul_f64_e32 v[6:7], v[0:1], v[210:211]
	s_delay_alu instid0(VALU_DEP_2) | instskip(NEXT) | instid1(VALU_DEP_2)
	v_fma_f64 v[8:9], v[0:1], v[208:209], -v[4:5]
	v_fma_f64 v[10:11], v[2:3], v[208:209], v[6:7]
	global_load_b128 v[4:7], v207, s[8:9] offset:9408
	ds_load_b128 v[208:211], v206 offset:9408
	s_wait_loadcnt_dscnt 0x0
	;; [unrolled: 8-line block ×3, first 2 shown]
	v_mul_f64_e32 v[12:13], v[2:3], v[6:7]
	v_mul_f64_e32 v[6:7], v[0:1], v[6:7]
	s_delay_alu instid0(VALU_DEP_2) | instskip(NEXT) | instid1(VALU_DEP_2)
	v_fma_f64 v[0:1], v[0:1], v[4:5], -v[12:13]
	v_fma_f64 v[2:3], v[2:3], v[4:5], v[6:7]
	ds_store_b128 v206, v[24:27]
	ds_store_b128 v206, v[14:17] offset:1568
	ds_store_b128 v206, v[20:23] offset:12544
	;; [unrolled: 1-line block ×13, first 2 shown]
	global_wb scope:SCOPE_SE
	s_wait_dscnt 0x0
	s_barrier_signal -1
	s_barrier_wait -1
	global_inv scope:SCOPE_SE
	ds_load_b128 v[0:3], v206 offset:10976
	ds_load_b128 v[4:7], v206
	ds_load_b128 v[8:11], v206 offset:1568
	ds_load_b128 v[12:15], v206 offset:12544
	;; [unrolled: 1-line block ×12, first 2 shown]
	global_wb scope:SCOPE_SE
	s_wait_dscnt 0x0
	s_barrier_signal -1
	s_barrier_wait -1
	global_inv scope:SCOPE_SE
	scratch_load_b32 v32, off, off offset:252 th:TH_LOAD_LU ; 4-byte Folded Reload
	v_add_f64_e64 v[0:1], v[4:5], -v[0:1]
	v_add_f64_e64 v[2:3], v[6:7], -v[2:3]
	s_delay_alu instid0(VALU_DEP_2) | instskip(NEXT) | instid1(VALU_DEP_2)
	v_fma_f64 v[4:5], v[4:5], 2.0, -v[0:1]
	v_fma_f64 v[6:7], v[6:7], 2.0, -v[2:3]
	s_wait_loadcnt 0x0
	ds_store_b128 v32, v[0:3] offset:16
	ds_store_b128 v32, v[4:7]
	v_add_f64_e64 v[0:1], v[8:9], -v[12:13]
	v_add_f64_e64 v[2:3], v[10:11], -v[14:15]
	s_delay_alu instid0(VALU_DEP_2)
	v_fma_f64 v[4:5], v[8:9], 2.0, -v[0:1]
	scratch_load_b32 v8, off, off offset:248 th:TH_LOAD_LU ; 4-byte Folded Reload
	v_fma_f64 v[6:7], v[10:11], 2.0, -v[2:3]
	s_wait_loadcnt 0x0
	ds_store_b128 v8, v[4:7]
	ds_store_b128 v8, v[0:3] offset:16
	v_add_f64_e64 v[0:1], v[24:25], -v[20:21]
	v_add_f64_e64 v[2:3], v[26:27], -v[22:23]
	scratch_load_b32 v8, off, off offset:244 th:TH_LOAD_LU ; 4-byte Folded Reload
	v_fma_f64 v[4:5], v[24:25], 2.0, -v[0:1]
	v_fma_f64 v[6:7], v[26:27], 2.0, -v[2:3]
	s_wait_loadcnt 0x0
	ds_store_b128 v8, v[4:7]
	ds_store_b128 v8, v[0:3] offset:16
	v_add_f64_e64 v[0:1], v[28:29], -v[207:208]
	v_add_f64_e64 v[2:3], v[30:31], -v[209:210]
	scratch_load_b32 v8, off, off offset:240 th:TH_LOAD_LU ; 4-byte Folded Reload
	v_fma_f64 v[4:5], v[28:29], 2.0, -v[0:1]
	;; [unrolled: 8-line block ×5, first 2 shown]
	v_fma_f64 v[6:7], v[18:19], 2.0, -v[2:3]
	s_wait_loadcnt 0x0
	ds_store_b128 v8, v[4:7]
	ds_store_b128 v8, v[0:3] offset:16
	global_wb scope:SCOPE_SE
	s_wait_dscnt 0x0
	s_barrier_signal -1
	s_barrier_wait -1
	global_inv scope:SCOPE_SE
	ds_load_b128 v[0:3], v206 offset:10976
	s_wait_dscnt 0x0
	v_mul_f64_e32 v[4:5], v[58:59], v[2:3]
	s_delay_alu instid0(VALU_DEP_1) | instskip(SKIP_1) | instid1(VALU_DEP_1)
	v_fma_f64 v[4:5], v[56:57], v[0:1], v[4:5]
	v_mul_f64_e32 v[0:1], v[58:59], v[0:1]
	v_fma_f64 v[6:7], v[56:57], v[2:3], -v[0:1]
	ds_load_b128 v[0:3], v206 offset:12544
	s_wait_dscnt 0x0
	v_mul_f64_e32 v[8:9], v[58:59], v[2:3]
	s_delay_alu instid0(VALU_DEP_1) | instskip(SKIP_1) | instid1(VALU_DEP_1)
	v_fma_f64 v[32:33], v[56:57], v[0:1], v[8:9]
	v_mul_f64_e32 v[0:1], v[58:59], v[0:1]
	v_fma_f64 v[34:35], v[56:57], v[2:3], -v[0:1]
	;; [unrolled: 7-line block ×7, first 2 shown]
	ds_load_b128 v[0:3], v206
	ds_load_b128 v[8:11], v206 offset:1568
	ds_load_b128 v[12:15], v206 offset:9408
	;; [unrolled: 1-line block ×6, first 2 shown]
	global_wb scope:SCOPE_SE
	s_wait_dscnt 0x0
	s_barrier_signal -1
	s_barrier_wait -1
	global_inv scope:SCOPE_SE
	v_add_f64_e64 v[4:5], v[0:1], -v[4:5]
	v_add_f64_e64 v[6:7], v[2:3], -v[6:7]
	s_delay_alu instid0(VALU_DEP_2) | instskip(NEXT) | instid1(VALU_DEP_2)
	v_fma_f64 v[0:1], v[0:1], 2.0, -v[4:5]
	v_fma_f64 v[2:3], v[2:3], 2.0, -v[6:7]
	ds_store_b128 v255, v[4:7] offset:32
	ds_store_b128 v255, v[0:3]
	v_add_f64_e64 v[0:1], v[8:9], -v[32:33]
	v_add_f64_e64 v[2:3], v[10:11], -v[34:35]
	s_delay_alu instid0(VALU_DEP_2)
	v_fma_f64 v[4:5], v[8:9], 2.0, -v[0:1]
	scratch_load_b32 v8, off, off offset:276 th:TH_LOAD_LU ; 4-byte Folded Reload
	v_fma_f64 v[6:7], v[10:11], 2.0, -v[2:3]
	s_wait_loadcnt 0x0
	ds_store_b128 v8, v[4:7]
	ds_store_b128 v8, v[0:3] offset:32
	v_add_f64_e64 v[0:1], v[16:17], -v[36:37]
	v_add_f64_e64 v[2:3], v[18:19], -v[38:39]
	scratch_load_b32 v8, off, off offset:272 th:TH_LOAD_LU ; 4-byte Folded Reload
	v_fma_f64 v[4:5], v[16:17], 2.0, -v[0:1]
	v_fma_f64 v[6:7], v[18:19], 2.0, -v[2:3]
	s_wait_loadcnt 0x0
	ds_store_b128 v8, v[4:7]
	ds_store_b128 v8, v[0:3] offset:32
	v_add_f64_e64 v[0:1], v[20:21], -v[40:41]
	v_add_f64_e64 v[2:3], v[22:23], -v[42:43]
	scratch_load_b32 v8, off, off offset:268 th:TH_LOAD_LU ; 4-byte Folded Reload
	v_fma_f64 v[4:5], v[20:21], 2.0, -v[0:1]
	;; [unrolled: 8-line block ×5, first 2 shown]
	v_fma_f64 v[6:7], v[14:15], 2.0, -v[2:3]
	s_wait_loadcnt 0x0
	ds_store_b128 v8, v[4:7]
	ds_store_b128 v8, v[0:3] offset:32
	global_wb scope:SCOPE_SE
	s_wait_dscnt 0x0
	s_barrier_signal -1
	s_barrier_wait -1
	global_inv scope:SCOPE_SE
	ds_load_b128 v[0:3], v206 offset:3136
	s_wait_dscnt 0x0
	v_mul_f64_e32 v[4:5], v[222:223], v[2:3]
	s_delay_alu instid0(VALU_DEP_1) | instskip(SKIP_1) | instid1(VALU_DEP_1)
	v_fma_f64 v[4:5], v[220:221], v[0:1], v[4:5]
	v_mul_f64_e32 v[0:1], v[222:223], v[0:1]
	v_fma_f64 v[6:7], v[220:221], v[2:3], -v[0:1]
	ds_load_b128 v[0:3], v206 offset:6272
	s_wait_dscnt 0x0
	v_mul_f64_e32 v[8:9], v[106:107], v[2:3]
	s_delay_alu instid0(VALU_DEP_1) | instskip(SKIP_1) | instid1(VALU_DEP_1)
	v_fma_f64 v[8:9], v[104:105], v[0:1], v[8:9]
	v_mul_f64_e32 v[0:1], v[106:107], v[0:1]
	v_fma_f64 v[10:11], v[104:105], v[2:3], -v[0:1]
	ds_load_b128 v[0:3], v206 offset:15680
	s_wait_dscnt 0x0
	v_mul_f64_e32 v[12:13], v[102:103], v[2:3]
	s_delay_alu instid0(VALU_DEP_1) | instskip(SKIP_1) | instid1(VALU_DEP_2)
	v_fma_f64 v[12:13], v[100:101], v[0:1], v[12:13]
	v_mul_f64_e32 v[0:1], v[102:103], v[0:1]
	v_add_f64_e32 v[30:31], v[8:9], v[12:13]
	s_delay_alu instid0(VALU_DEP_2)
	v_fma_f64 v[14:15], v[100:101], v[2:3], -v[0:1]
	ds_load_b128 v[0:3], v206 offset:18816
	v_add_f64_e64 v[8:9], v[8:9], -v[12:13]
	s_wait_dscnt 0x0
	v_mul_f64_e32 v[16:17], v[218:219], v[2:3]
	v_add_f64_e32 v[62:63], v[10:11], v[14:15]
	s_delay_alu instid0(VALU_DEP_2) | instskip(SKIP_1) | instid1(VALU_DEP_1)
	v_fma_f64 v[16:17], v[216:217], v[0:1], v[16:17]
	v_mul_f64_e32 v[0:1], v[218:219], v[0:1]
	v_fma_f64 v[18:19], v[216:217], v[2:3], -v[0:1]
	ds_load_b128 v[0:3], v206 offset:4704
	s_wait_dscnt 0x0
	v_mul_f64_e32 v[20:21], v[90:91], v[2:3]
	v_add_f64_e32 v[60:61], v[6:7], v[18:19]
	v_add_f64_e64 v[18:19], v[6:7], -v[18:19]
	s_delay_alu instid0(VALU_DEP_3) | instskip(SKIP_1) | instid1(VALU_DEP_1)
	v_fma_f64 v[32:33], v[88:89], v[0:1], v[20:21]
	v_mul_f64_e32 v[0:1], v[90:91], v[0:1]
	v_fma_f64 v[34:35], v[88:89], v[2:3], -v[0:1]
	ds_load_b128 v[0:3], v206 offset:7840
	s_wait_dscnt 0x0
	v_mul_f64_e32 v[20:21], v[98:99], v[2:3]
	s_delay_alu instid0(VALU_DEP_1) | instskip(SKIP_1) | instid1(VALU_DEP_1)
	v_fma_f64 v[36:37], v[96:97], v[0:1], v[20:21]
	v_mul_f64_e32 v[0:1], v[98:99], v[0:1]
	v_fma_f64 v[38:39], v[96:97], v[2:3], -v[0:1]
	ds_load_b128 v[0:3], v206 offset:20384
	s_wait_dscnt 0x0
	v_mul_f64_e32 v[20:21], v[82:83], v[2:3]
	s_delay_alu instid0(VALU_DEP_1) | instskip(SKIP_1) | instid1(VALU_DEP_1)
	;; [unrolled: 7-line block ×4, first 2 shown]
	v_fma_f64 v[20:21], v[76:77], v[0:1], v[20:21]
	v_mul_f64_e32 v[0:1], v[78:79], v[0:1]
	v_fma_f64 v[22:23], v[76:77], v[2:3], -v[0:1]
	ds_load_b128 v[0:3], v206 offset:12544
	s_wait_dscnt 0x0
	v_mul_f64_e32 v[24:25], v[86:87], v[2:3]
	s_delay_alu instid0(VALU_DEP_1) | instskip(SKIP_1) | instid1(VALU_DEP_2)
	v_fma_f64 v[24:25], v[84:85], v[0:1], v[24:25]
	v_mul_f64_e32 v[0:1], v[86:87], v[0:1]
	v_add_f64_e64 v[12:13], v[24:25], -v[20:21]
	s_delay_alu instid0(VALU_DEP_2)
	v_fma_f64 v[26:27], v[84:85], v[2:3], -v[0:1]
	ds_load_b128 v[0:3], v206 offset:10976
	v_add_f64_e32 v[56:57], v[20:21], v[24:25]
	s_wait_dscnt 0x0
	v_mul_f64_e32 v[28:29], v[214:215], v[2:3]
	v_add_f64_e64 v[6:7], v[12:13], -v[8:9]
	v_add_f64_e32 v[64:65], v[22:23], v[26:27]
	s_delay_alu instid0(VALU_DEP_4) | instskip(NEXT) | instid1(VALU_DEP_4)
	v_add_f64_e64 v[24:25], v[56:57], -v[30:31]
	v_fma_f64 v[48:49], v[212:213], v[0:1], v[28:29]
	v_mul_f64_e32 v[0:1], v[214:215], v[0:1]
	s_wait_alu 0xfffe
	v_mul_f64_e32 v[68:69], s[22:23], v[6:7]
	s_delay_alu instid0(VALU_DEP_2) | instskip(SKIP_3) | instid1(VALU_DEP_1)
	v_fma_f64 v[50:51], v[212:213], v[2:3], -v[0:1]
	ds_load_b128 v[0:3], v206 offset:14112
	s_wait_dscnt 0x0
	v_mul_f64_e32 v[28:29], v[94:95], v[2:3]
	v_fma_f64 v[52:53], v[92:93], v[0:1], v[28:29]
	v_mul_f64_e32 v[0:1], v[94:95], v[0:1]
	v_add_f64_e32 v[28:29], v[4:5], v[16:17]
	v_add_f64_e64 v[16:17], v[4:5], -v[16:17]
	v_add_f64_e64 v[4:5], v[10:11], -v[14:15]
	;; [unrolled: 1-line block ×3, first 2 shown]
	v_fma_f64 v[54:55], v[92:93], v[2:3], -v[0:1]
	v_add_f64_e32 v[0:1], v[30:31], v[28:29]
	v_add_f64_e64 v[20:21], v[8:9], -v[16:17]
	v_add_f64_e32 v[8:9], v[12:13], v[8:9]
	v_add_f64_e64 v[10:11], v[14:15], -v[4:5]
	v_add_f64_e64 v[22:23], v[4:5], -v[18:19]
	;; [unrolled: 1-line block ×4, first 2 shown]
	v_add_f64_e32 v[4:5], v[14:15], v[4:5]
	v_add_f64_e64 v[30:31], v[64:65], -v[62:63]
	v_add_f64_e32 v[58:59], v[56:57], v[0:1]
	v_add_f64_e32 v[0:1], v[62:63], v[60:61]
	;; [unrolled: 1-line block ×3, first 2 shown]
	v_mul_f64_e32 v[70:71], s[22:23], v[10:11]
	v_fma_f64 v[8:9], v[20:21], s[16:17], -v[68:69]
	v_add_f64_e64 v[56:57], v[60:61], -v[64:65]
	v_add_f64_e64 v[62:63], v[62:63], -v[60:61]
	;; [unrolled: 1-line block ×3, first 2 shown]
	v_mul_f64_e32 v[12:13], s[14:15], v[20:21]
	v_mul_f64_e32 v[20:21], s[28:29], v[28:29]
	v_add_f64_e32 v[74:75], v[4:5], v[18:19]
	v_mul_f64_e32 v[4:5], s[12:13], v[24:25]
	v_mul_f64_e32 v[6:7], s[12:13], v[30:31]
	v_add_f64_e32 v[66:67], v[64:65], v[0:1]
	ds_load_b128 v[0:3], v206
	v_add_f64_e64 v[64:65], v[18:19], -v[14:15]
	v_fma_f64 v[10:11], v[72:73], s[24:25], v[8:9]
	v_fma_f64 v[8:9], v[22:23], s[16:17], -v[70:71]
	v_mul_f64_e32 v[14:15], s[14:15], v[22:23]
	v_mul_f64_e32 v[22:23], s[28:29], v[56:57]
	v_fma_f64 v[12:13], v[60:61], s[34:35], v[12:13]
	v_fma_f64 v[16:17], v[26:27], s[30:31], -v[20:21]
	v_fma_f64 v[20:21], v[24:25], s[12:13], v[20:21]
	v_fma_f64 v[4:5], v[26:27], s[20:21], -v[4:5]
	v_fma_f64 v[6:7], v[62:63], s[20:21], -v[6:7]
	s_wait_dscnt 0x0
	v_add_f64_e32 v[0:1], v[0:1], v[58:59]
	v_add_f64_e32 v[2:3], v[2:3], v[66:67]
	v_fma_f64 v[8:9], v[74:75], s[24:25], v[8:9]
	v_fma_f64 v[14:15], v[64:65], s[34:35], v[14:15]
	v_fma_f64 v[18:19], v[62:63], s[30:31], -v[22:23]
	v_fma_f64 v[26:27], v[72:73], s[24:25], v[12:13]
	v_fma_f64 v[22:23], v[30:31], s[12:13], v[22:23]
	;; [unrolled: 1-line block ×5, first 2 shown]
	s_delay_alu instid0(VALU_DEP_3) | instskip(SKIP_1) | instid1(VALU_DEP_4)
	v_add_f64_e32 v[16:17], v[16:17], v[58:59]
	v_add_f64_e32 v[76:77], v[4:5], v[58:59]
	;; [unrolled: 1-line block ×6, first 2 shown]
	v_add_f64_e64 v[16:17], v[16:17], -v[28:29]
	v_fma_f64 v[28:29], v[64:65], s[26:27], v[70:71]
	v_add_f64_e64 v[4:5], v[76:77], -v[8:9]
	v_add_f64_e32 v[8:9], v[8:9], v[76:77]
	v_add_f64_e64 v[14:15], v[18:19], -v[26:27]
	v_add_f64_e32 v[18:19], v[26:27], v[18:19]
	v_fma_f64 v[26:27], v[60:61], s[26:27], v[68:69]
	v_add_f64_e32 v[6:7], v[10:11], v[78:79]
	v_add_f64_e64 v[10:11], v[78:79], -v[10:11]
	v_fma_f64 v[24:25], v[74:75], s[24:25], v[28:29]
	v_add_f64_e32 v[28:29], v[20:21], v[58:59]
	v_fma_f64 v[26:27], v[72:73], s[24:25], v[26:27]
	s_delay_alu instid0(VALU_DEP_2) | instskip(SKIP_1) | instid1(VALU_DEP_3)
	v_add_f64_e32 v[20:21], v[24:25], v[28:29]
	v_add_f64_e64 v[24:25], v[28:29], -v[24:25]
	v_add_f64_e64 v[22:23], v[30:31], -v[26:27]
	v_add_f64_e32 v[26:27], v[26:27], v[30:31]
	ds_load_b128 v[28:31], v206 offset:1568
	global_wb scope:SCOPE_SE
	s_wait_dscnt 0x0
	s_barrier_signal -1
	s_barrier_wait -1
	global_inv scope:SCOPE_SE
	ds_store_b128 v205, v[0:3]
	ds_store_b128 v205, v[20:23] offset:64
	ds_store_b128 v205, v[12:15] offset:128
	;; [unrolled: 1-line block ×6, first 2 shown]
	v_add_f64_e32 v[12:13], v[32:33], v[40:41]
	v_add_f64_e32 v[4:5], v[36:37], v[44:45]
	;; [unrolled: 1-line block ×6, first 2 shown]
	v_add_f64_e64 v[20:21], v[36:37], -v[44:45]
	v_add_f64_e64 v[22:23], v[52:53], -v[48:49]
	;; [unrolled: 1-line block ×4, first 2 shown]
	v_add_f64_e32 v[0:1], v[4:5], v[12:13]
	v_add_f64_e64 v[40:41], v[14:15], -v[4:5]
	v_add_f64_e64 v[46:47], v[8:9], -v[16:17]
	;; [unrolled: 1-line block ×4, first 2 shown]
	v_add_f64_e32 v[6:7], v[14:15], v[0:1]
	v_add_f64_e32 v[0:1], v[8:9], v[16:17]
	s_delay_alu instid0(VALU_DEP_4) | instskip(NEXT) | instid1(VALU_DEP_4)
	v_mul_f64_e32 v[8:9], s[12:13], v[44:45]
	v_mul_f64_e32 v[32:33], s[22:23], v[32:33]
	s_delay_alu instid0(VALU_DEP_3) | instskip(SKIP_3) | instid1(VALU_DEP_4)
	v_add_f64_e32 v[10:11], v[18:19], v[0:1]
	v_add_f64_e32 v[0:1], v[28:29], v[6:7]
	v_add_f64_e64 v[28:29], v[54:55], -v[50:51]
	v_fma_f64 v[8:9], v[46:47], s[20:21], -v[8:9]
	v_add_f64_e32 v[2:3], v[30:31], v[10:11]
	v_add_f64_e64 v[30:31], v[34:35], -v[42:43]
	v_add_f64_e64 v[34:35], v[20:21], -v[24:25]
	v_add_f64_e32 v[20:21], v[22:23], v[20:21]
	v_add_f64_e64 v[36:37], v[28:29], -v[26:27]
	v_add_f64_e64 v[42:43], v[4:5], -v[12:13]
	v_add_f64_e64 v[12:13], v[12:13], -v[14:15]
	v_add_f64_e64 v[14:15], v[16:17], -v[18:19]
	v_fma_f64 v[48:49], v[6:7], s[18:19], v[0:1]
	v_add_f64_e64 v[22:23], v[24:25], -v[22:23]
	v_mul_f64_e32 v[4:5], s[12:13], v[40:41]
	v_fma_f64 v[50:51], v[10:11], s[18:19], v[2:3]
	v_add_f64_e64 v[38:39], v[26:27], -v[30:31]
	v_add_f64_e32 v[26:27], v[28:29], v[26:27]
	v_add_f64_e32 v[20:21], v[20:21], v[24:25]
	v_mul_f64_e32 v[36:37], s[22:23], v[36:37]
	v_fma_f64 v[6:7], v[34:35], s[16:17], -v[32:33]
	v_add_f64_e64 v[24:25], v[30:31], -v[28:29]
	v_mul_f64_e32 v[16:17], s[14:15], v[34:35]
	v_mul_f64_e32 v[28:29], s[28:29], v[12:13]
	v_fma_f64 v[4:5], v[42:43], s[20:21], -v[4:5]
	v_add_f64_e32 v[56:57], v[8:9], v[50:51]
	v_mul_f64_e32 v[18:19], s[14:15], v[38:39]
	v_add_f64_e32 v[26:27], v[26:27], v[30:31]
	v_mul_f64_e32 v[30:31], s[28:29], v[14:15]
	v_fma_f64 v[10:11], v[20:21], s[24:25], v[6:7]
	v_fma_f64 v[6:7], v[38:39], s[16:17], -v[36:37]
	v_fma_f64 v[12:13], v[22:23], s[34:35], v[16:17]
	v_fma_f64 v[16:17], v[42:43], s[30:31], -v[28:29]
	v_fma_f64 v[22:23], v[22:23], s[26:27], v[32:33]
	v_fma_f64 v[28:29], v[40:41], s[12:13], v[28:29]
	v_add_f64_e32 v[54:55], v[4:5], v[48:49]
	v_fma_f64 v[14:15], v[24:25], s[34:35], v[18:19]
	v_fma_f64 v[24:25], v[24:25], s[26:27], v[36:37]
	v_fma_f64 v[18:19], v[46:47], s[30:31], -v[30:31]
	v_fma_f64 v[30:31], v[44:45], s[12:13], v[30:31]
	v_fma_f64 v[52:53], v[26:27], s[24:25], v[6:7]
	;; [unrolled: 1-line block ×3, first 2 shown]
	v_add_f64_e32 v[16:17], v[16:17], v[48:49]
	v_fma_f64 v[32:33], v[20:21], s[24:25], v[22:23]
	v_add_f64_e32 v[6:7], v[10:11], v[56:57]
	v_add_f64_e64 v[10:11], v[56:57], -v[10:11]
	v_fma_f64 v[38:39], v[26:27], s[24:25], v[14:15]
	v_fma_f64 v[24:25], v[26:27], s[24:25], v[24:25]
	v_add_f64_e32 v[26:27], v[28:29], v[48:49]
	v_add_f64_e32 v[28:29], v[30:31], v[50:51]
	;; [unrolled: 1-line block ×3, first 2 shown]
	v_add_f64_e64 v[4:5], v[54:55], -v[52:53]
	v_add_f64_e32 v[8:9], v[52:53], v[54:55]
	v_add_f64_e32 v[12:13], v[38:39], v[16:17]
	v_add_f64_e64 v[16:17], v[16:17], -v[38:39]
	v_add_f64_e32 v[20:21], v[24:25], v[26:27]
	v_add_f64_e64 v[22:23], v[28:29], -v[32:33]
	v_add_f64_e64 v[14:15], v[18:19], -v[34:35]
	v_add_f64_e32 v[18:19], v[34:35], v[18:19]
	v_add_f64_e64 v[24:25], v[26:27], -v[24:25]
	v_add_f64_e32 v[26:27], v[32:33], v[28:29]
	ds_store_b128 v204, v[0:3]
	ds_store_b128 v204, v[20:23] offset:64
	ds_store_b128 v204, v[12:15] offset:128
	;; [unrolled: 1-line block ×6, first 2 shown]
	global_wb scope:SCOPE_SE
	s_wait_dscnt 0x0
	s_barrier_signal -1
	s_barrier_wait -1
	global_inv scope:SCOPE_SE
	ds_load_b128 v[0:3], v206 offset:3136
	s_wait_dscnt 0x0
	v_mul_f64_e32 v[4:5], v[110:111], v[2:3]
	s_delay_alu instid0(VALU_DEP_1) | instskip(SKIP_1) | instid1(VALU_DEP_1)
	v_fma_f64 v[4:5], v[108:109], v[0:1], v[4:5]
	v_mul_f64_e32 v[0:1], v[110:111], v[0:1]
	v_fma_f64 v[6:7], v[108:109], v[2:3], -v[0:1]
	ds_load_b128 v[0:3], v206 offset:6272
	s_wait_dscnt 0x0
	v_mul_f64_e32 v[8:9], v[122:123], v[2:3]
	s_delay_alu instid0(VALU_DEP_1) | instskip(SKIP_1) | instid1(VALU_DEP_1)
	v_fma_f64 v[8:9], v[120:121], v[0:1], v[8:9]
	v_mul_f64_e32 v[0:1], v[122:123], v[0:1]
	v_fma_f64 v[10:11], v[120:121], v[2:3], -v[0:1]
	;; [unrolled: 7-line block ×3, first 2 shown]
	ds_load_b128 v[0:3], v206 offset:15680
	s_wait_dscnt 0x0
	v_mul_f64_e32 v[16:17], v[130:131], v[2:3]
	v_add_f64_e32 v[60:61], v[6:7], v[14:15]
	v_add_f64_e64 v[14:15], v[6:7], -v[14:15]
	s_delay_alu instid0(VALU_DEP_3) | instskip(SKIP_1) | instid1(VALU_DEP_2)
	v_fma_f64 v[16:17], v[128:129], v[0:1], v[16:17]
	v_mul_f64_e32 v[0:1], v[130:131], v[0:1]
	v_add_f64_e32 v[30:31], v[8:9], v[16:17]
	s_delay_alu instid0(VALU_DEP_2)
	v_fma_f64 v[18:19], v[128:129], v[2:3], -v[0:1]
	ds_load_b128 v[0:3], v206 offset:4704
	v_add_f64_e64 v[8:9], v[8:9], -v[16:17]
	s_wait_dscnt 0x0
	v_mul_f64_e32 v[20:21], v[138:139], v[2:3]
	v_add_f64_e32 v[62:63], v[10:11], v[18:19]
	s_delay_alu instid0(VALU_DEP_2) | instskip(SKIP_1) | instid1(VALU_DEP_1)
	v_fma_f64 v[32:33], v[136:137], v[0:1], v[20:21]
	v_mul_f64_e32 v[0:1], v[138:139], v[0:1]
	v_fma_f64 v[34:35], v[136:137], v[2:3], -v[0:1]
	ds_load_b128 v[0:3], v206 offset:7840
	s_wait_dscnt 0x0
	v_mul_f64_e32 v[20:21], v[142:143], v[2:3]
	s_delay_alu instid0(VALU_DEP_1) | instskip(SKIP_1) | instid1(VALU_DEP_1)
	v_fma_f64 v[36:37], v[140:141], v[0:1], v[20:21]
	v_mul_f64_e32 v[0:1], v[142:143], v[0:1]
	v_fma_f64 v[38:39], v[140:141], v[2:3], -v[0:1]
	ds_load_b128 v[0:3], v206 offset:20384
	s_wait_dscnt 0x0
	v_mul_f64_e32 v[20:21], v[166:167], v[2:3]
	s_delay_alu instid0(VALU_DEP_1) | instskip(SKIP_1) | instid1(VALU_DEP_1)
	;; [unrolled: 7-line block ×4, first 2 shown]
	v_fma_f64 v[20:21], v[112:113], v[0:1], v[20:21]
	v_mul_f64_e32 v[0:1], v[114:115], v[0:1]
	v_fma_f64 v[22:23], v[112:113], v[2:3], -v[0:1]
	ds_load_b128 v[0:3], v206 offset:12544
	s_wait_dscnt 0x0
	v_mul_f64_e32 v[24:25], v[118:119], v[2:3]
	s_delay_alu instid0(VALU_DEP_1) | instskip(SKIP_1) | instid1(VALU_DEP_2)
	v_fma_f64 v[24:25], v[116:117], v[0:1], v[24:25]
	v_mul_f64_e32 v[0:1], v[118:119], v[0:1]
	v_add_f64_e64 v[16:17], v[24:25], -v[20:21]
	s_delay_alu instid0(VALU_DEP_2)
	v_fma_f64 v[26:27], v[116:117], v[2:3], -v[0:1]
	ds_load_b128 v[0:3], v206 offset:10976
	v_add_f64_e32 v[56:57], v[20:21], v[24:25]
	s_wait_dscnt 0x0
	v_mul_f64_e32 v[28:29], v[146:147], v[2:3]
	v_add_f64_e64 v[6:7], v[16:17], -v[8:9]
	v_add_f64_e32 v[64:65], v[22:23], v[26:27]
	s_delay_alu instid0(VALU_DEP_4) | instskip(NEXT) | instid1(VALU_DEP_4)
	v_add_f64_e64 v[24:25], v[56:57], -v[30:31]
	v_fma_f64 v[48:49], v[144:145], v[0:1], v[28:29]
	v_mul_f64_e32 v[0:1], v[146:147], v[0:1]
	v_mul_f64_e32 v[68:69], s[22:23], v[6:7]
	s_delay_alu instid0(VALU_DEP_2) | instskip(SKIP_3) | instid1(VALU_DEP_1)
	v_fma_f64 v[50:51], v[144:145], v[2:3], -v[0:1]
	ds_load_b128 v[0:3], v206 offset:14112
	s_wait_dscnt 0x0
	v_mul_f64_e32 v[28:29], v[150:151], v[2:3]
	v_fma_f64 v[52:53], v[148:149], v[0:1], v[28:29]
	v_mul_f64_e32 v[0:1], v[150:151], v[0:1]
	v_add_f64_e32 v[28:29], v[4:5], v[12:13]
	v_add_f64_e64 v[12:13], v[4:5], -v[12:13]
	v_add_f64_e64 v[4:5], v[10:11], -v[18:19]
	;; [unrolled: 1-line block ×3, first 2 shown]
	v_fma_f64 v[54:55], v[148:149], v[2:3], -v[0:1]
	v_add_f64_e32 v[0:1], v[30:31], v[28:29]
	v_add_f64_e64 v[20:21], v[8:9], -v[12:13]
	v_add_f64_e32 v[8:9], v[16:17], v[8:9]
	v_add_f64_e64 v[10:11], v[18:19], -v[4:5]
	v_add_f64_e64 v[22:23], v[4:5], -v[14:15]
	v_add_f64_e32 v[4:5], v[18:19], v[4:5]
	v_add_f64_e64 v[26:27], v[30:31], -v[28:29]
	v_add_f64_e64 v[28:29], v[28:29], -v[56:57]
	;; [unrolled: 1-line block ×3, first 2 shown]
	v_add_f64_e32 v[58:59], v[56:57], v[0:1]
	v_add_f64_e32 v[0:1], v[62:63], v[60:61]
	;; [unrolled: 1-line block ×3, first 2 shown]
	v_mul_f64_e32 v[70:71], s[22:23], v[10:11]
	v_fma_f64 v[8:9], v[20:21], s[16:17], -v[68:69]
	v_add_f64_e64 v[56:57], v[60:61], -v[64:65]
	v_add_f64_e64 v[62:63], v[62:63], -v[60:61]
	v_add_f64_e32 v[74:75], v[4:5], v[14:15]
	v_add_f64_e64 v[60:61], v[12:13], -v[16:17]
	v_mul_f64_e32 v[12:13], s[14:15], v[20:21]
	v_mul_f64_e32 v[20:21], s[28:29], v[28:29]
	;; [unrolled: 1-line block ×4, first 2 shown]
	v_add_f64_e32 v[66:67], v[64:65], v[0:1]
	ds_load_b128 v[0:3], v206
	v_add_f64_e64 v[64:65], v[14:15], -v[18:19]
	v_fma_f64 v[10:11], v[72:73], s[24:25], v[8:9]
	v_fma_f64 v[8:9], v[22:23], s[16:17], -v[70:71]
	v_mul_f64_e32 v[14:15], s[14:15], v[22:23]
	v_mul_f64_e32 v[22:23], s[28:29], v[56:57]
	v_fma_f64 v[12:13], v[60:61], s[34:35], v[12:13]
	v_fma_f64 v[16:17], v[26:27], s[30:31], -v[20:21]
	v_fma_f64 v[4:5], v[26:27], s[20:21], -v[4:5]
	v_fma_f64 v[20:21], v[24:25], s[12:13], v[20:21]
	v_fma_f64 v[6:7], v[62:63], s[20:21], -v[6:7]
	s_wait_dscnt 0x0
	v_add_f64_e32 v[0:1], v[0:1], v[58:59]
	v_add_f64_e32 v[2:3], v[2:3], v[66:67]
	v_fma_f64 v[8:9], v[74:75], s[24:25], v[8:9]
	v_fma_f64 v[14:15], v[64:65], s[34:35], v[14:15]
	v_fma_f64 v[18:19], v[62:63], s[30:31], -v[22:23]
	v_fma_f64 v[22:23], v[30:31], s[12:13], v[22:23]
	v_fma_f64 v[26:27], v[72:73], s[24:25], v[12:13]
	;; [unrolled: 1-line block ×5, first 2 shown]
	s_delay_alu instid0(VALU_DEP_3) | instskip(SKIP_1) | instid1(VALU_DEP_4)
	v_add_f64_e32 v[16:17], v[16:17], v[58:59]
	v_add_f64_e32 v[76:77], v[4:5], v[58:59]
	;; [unrolled: 1-line block ×6, first 2 shown]
	v_add_f64_e64 v[16:17], v[16:17], -v[28:29]
	v_fma_f64 v[28:29], v[64:65], s[26:27], v[70:71]
	v_add_f64_e64 v[4:5], v[76:77], -v[8:9]
	v_add_f64_e32 v[8:9], v[8:9], v[76:77]
	v_add_f64_e64 v[14:15], v[18:19], -v[26:27]
	v_add_f64_e32 v[18:19], v[26:27], v[18:19]
	v_fma_f64 v[26:27], v[60:61], s[26:27], v[68:69]
	v_add_f64_e32 v[6:7], v[10:11], v[78:79]
	v_add_f64_e64 v[10:11], v[78:79], -v[10:11]
	v_fma_f64 v[24:25], v[74:75], s[24:25], v[28:29]
	v_add_f64_e32 v[28:29], v[20:21], v[58:59]
	v_fma_f64 v[26:27], v[72:73], s[24:25], v[26:27]
	s_delay_alu instid0(VALU_DEP_2) | instskip(SKIP_1) | instid1(VALU_DEP_3)
	v_add_f64_e32 v[20:21], v[24:25], v[28:29]
	v_add_f64_e64 v[24:25], v[28:29], -v[24:25]
	v_add_f64_e64 v[22:23], v[30:31], -v[26:27]
	v_add_f64_e32 v[26:27], v[26:27], v[30:31]
	ds_load_b128 v[28:31], v206 offset:1568
	global_wb scope:SCOPE_SE
	s_wait_dscnt 0x0
	s_barrier_signal -1
	s_barrier_wait -1
	global_inv scope:SCOPE_SE
	ds_store_b128 v225, v[0:3]
	ds_store_b128 v225, v[20:23] offset:448
	ds_store_b128 v225, v[12:15] offset:896
	;; [unrolled: 1-line block ×6, first 2 shown]
	v_add_f64_e32 v[12:13], v[32:33], v[40:41]
	v_add_f64_e32 v[4:5], v[36:37], v[44:45]
	;; [unrolled: 1-line block ×6, first 2 shown]
	v_add_f64_e64 v[20:21], v[36:37], -v[44:45]
	v_add_f64_e64 v[22:23], v[52:53], -v[48:49]
	;; [unrolled: 1-line block ×4, first 2 shown]
	v_add_f64_e32 v[0:1], v[4:5], v[12:13]
	v_add_f64_e64 v[40:41], v[14:15], -v[4:5]
	v_add_f64_e64 v[46:47], v[8:9], -v[16:17]
	;; [unrolled: 1-line block ×4, first 2 shown]
	v_add_f64_e32 v[6:7], v[14:15], v[0:1]
	v_add_f64_e32 v[0:1], v[8:9], v[16:17]
	s_delay_alu instid0(VALU_DEP_4) | instskip(NEXT) | instid1(VALU_DEP_4)
	v_mul_f64_e32 v[8:9], s[12:13], v[44:45]
	v_mul_f64_e32 v[32:33], s[22:23], v[32:33]
	s_delay_alu instid0(VALU_DEP_3) | instskip(SKIP_3) | instid1(VALU_DEP_4)
	v_add_f64_e32 v[10:11], v[18:19], v[0:1]
	v_add_f64_e32 v[0:1], v[28:29], v[6:7]
	v_add_f64_e64 v[28:29], v[54:55], -v[50:51]
	v_fma_f64 v[8:9], v[46:47], s[20:21], -v[8:9]
	v_add_f64_e32 v[2:3], v[30:31], v[10:11]
	v_add_f64_e64 v[30:31], v[34:35], -v[42:43]
	v_add_f64_e64 v[34:35], v[20:21], -v[24:25]
	v_add_f64_e32 v[20:21], v[22:23], v[20:21]
	v_add_f64_e64 v[36:37], v[28:29], -v[26:27]
	v_add_f64_e64 v[42:43], v[4:5], -v[12:13]
	;; [unrolled: 1-line block ×4, first 2 shown]
	v_fma_f64 v[48:49], v[6:7], s[18:19], v[0:1]
	v_add_f64_e64 v[22:23], v[24:25], -v[22:23]
	v_mul_f64_e32 v[4:5], s[12:13], v[40:41]
	v_fma_f64 v[50:51], v[10:11], s[18:19], v[2:3]
	v_add_f64_e64 v[38:39], v[26:27], -v[30:31]
	v_add_f64_e32 v[26:27], v[28:29], v[26:27]
	v_add_f64_e32 v[20:21], v[20:21], v[24:25]
	v_mul_f64_e32 v[36:37], s[22:23], v[36:37]
	v_fma_f64 v[6:7], v[34:35], s[16:17], -v[32:33]
	v_add_f64_e64 v[24:25], v[30:31], -v[28:29]
	v_mul_f64_e32 v[16:17], s[14:15], v[34:35]
	v_mul_f64_e32 v[28:29], s[28:29], v[12:13]
	v_fma_f64 v[4:5], v[42:43], s[20:21], -v[4:5]
	v_add_f64_e32 v[56:57], v[8:9], v[50:51]
	v_mul_f64_e32 v[18:19], s[14:15], v[38:39]
	v_add_f64_e32 v[26:27], v[26:27], v[30:31]
	v_mul_f64_e32 v[30:31], s[28:29], v[14:15]
	v_fma_f64 v[10:11], v[20:21], s[24:25], v[6:7]
	v_fma_f64 v[6:7], v[38:39], s[16:17], -v[36:37]
	v_fma_f64 v[12:13], v[22:23], s[34:35], v[16:17]
	v_fma_f64 v[16:17], v[42:43], s[30:31], -v[28:29]
	v_fma_f64 v[22:23], v[22:23], s[26:27], v[32:33]
	v_fma_f64 v[28:29], v[40:41], s[12:13], v[28:29]
	v_add_f64_e32 v[54:55], v[4:5], v[48:49]
	v_fma_f64 v[14:15], v[24:25], s[34:35], v[18:19]
	v_fma_f64 v[24:25], v[24:25], s[26:27], v[36:37]
	v_fma_f64 v[18:19], v[46:47], s[30:31], -v[30:31]
	v_fma_f64 v[30:31], v[44:45], s[12:13], v[30:31]
	v_fma_f64 v[52:53], v[26:27], s[24:25], v[6:7]
	;; [unrolled: 1-line block ×3, first 2 shown]
	v_add_f64_e32 v[16:17], v[16:17], v[48:49]
	v_fma_f64 v[32:33], v[20:21], s[24:25], v[22:23]
	v_add_f64_e32 v[6:7], v[10:11], v[56:57]
	v_add_f64_e64 v[10:11], v[56:57], -v[10:11]
	v_fma_f64 v[38:39], v[26:27], s[24:25], v[14:15]
	v_fma_f64 v[24:25], v[26:27], s[24:25], v[24:25]
	v_add_f64_e32 v[26:27], v[28:29], v[48:49]
	v_add_f64_e32 v[28:29], v[30:31], v[50:51]
	v_add_f64_e32 v[18:19], v[18:19], v[50:51]
	v_add_f64_e64 v[4:5], v[54:55], -v[52:53]
	v_add_f64_e32 v[8:9], v[52:53], v[54:55]
	v_add_f64_e32 v[12:13], v[38:39], v[16:17]
	v_add_f64_e64 v[16:17], v[16:17], -v[38:39]
	v_add_f64_e32 v[20:21], v[24:25], v[26:27]
	v_add_f64_e64 v[22:23], v[28:29], -v[32:33]
	v_add_f64_e64 v[14:15], v[18:19], -v[34:35]
	v_add_f64_e32 v[18:19], v[34:35], v[18:19]
	v_add_f64_e64 v[24:25], v[26:27], -v[24:25]
	v_add_f64_e32 v[26:27], v[32:33], v[28:29]
	ds_store_b128 v224, v[0:3]
	ds_store_b128 v224, v[20:23] offset:448
	ds_store_b128 v224, v[12:15] offset:896
	;; [unrolled: 1-line block ×6, first 2 shown]
	global_wb scope:SCOPE_SE
	s_wait_dscnt 0x0
	s_barrier_signal -1
	s_barrier_wait -1
	global_inv scope:SCOPE_SE
	ds_load_b128 v[0:3], v206 offset:3136
	s_wait_dscnt 0x0
	v_mul_f64_e32 v[4:5], v[134:135], v[2:3]
	s_delay_alu instid0(VALU_DEP_1) | instskip(SKIP_1) | instid1(VALU_DEP_1)
	v_fma_f64 v[8:9], v[132:133], v[0:1], v[4:5]
	v_mul_f64_e32 v[0:1], v[134:135], v[0:1]
	v_fma_f64 v[10:11], v[132:133], v[2:3], -v[0:1]
	ds_load_b128 v[0:3], v206 offset:6272
	s_wait_dscnt 0x0
	v_mul_f64_e32 v[4:5], v[170:171], v[2:3]
	s_delay_alu instid0(VALU_DEP_1) | instskip(SKIP_1) | instid1(VALU_DEP_1)
	v_fma_f64 v[12:13], v[168:169], v[0:1], v[4:5]
	v_mul_f64_e32 v[0:1], v[170:171], v[0:1]
	v_fma_f64 v[14:15], v[168:169], v[2:3], -v[0:1]
	ds_load_b128 v[0:3], v206 offset:18816
	s_wait_dscnt 0x0
	v_mul_f64_e32 v[4:5], v[178:179], v[2:3]
	s_delay_alu instid0(VALU_DEP_1) | instskip(SKIP_1) | instid1(VALU_DEP_2)
	v_fma_f64 v[16:17], v[176:177], v[0:1], v[4:5]
	v_mul_f64_e32 v[0:1], v[178:179], v[0:1]
	v_add_f64_e32 v[40:41], v[8:9], v[16:17]
	s_delay_alu instid0(VALU_DEP_2)
	v_fma_f64 v[18:19], v[176:177], v[2:3], -v[0:1]
	ds_load_b128 v[0:3], v206 offset:15680
	v_add_f64_e64 v[16:17], v[8:9], -v[16:17]
	s_wait_dscnt 0x0
	v_mul_f64_e32 v[4:5], v[174:175], v[2:3]
	v_add_f64_e32 v[48:49], v[10:11], v[18:19]
	v_add_f64_e64 v[18:19], v[10:11], -v[18:19]
	s_delay_alu instid0(VALU_DEP_3) | instskip(SKIP_1) | instid1(VALU_DEP_2)
	v_fma_f64 v[20:21], v[172:173], v[0:1], v[4:5]
	v_mul_f64_e32 v[0:1], v[174:175], v[0:1]
	v_add_f64_e32 v[42:43], v[12:13], v[20:21]
	s_delay_alu instid0(VALU_DEP_2)
	v_fma_f64 v[22:23], v[172:173], v[2:3], -v[0:1]
	ds_load_b128 v[0:3], v206 offset:4704
	v_add_f64_e64 v[12:13], v[12:13], -v[20:21]
	s_wait_dscnt 0x0
	v_mul_f64_e32 v[4:5], v[190:191], v[2:3]
	v_add_f64_e32 v[50:51], v[14:15], v[22:23]
	v_add_f64_e64 v[8:9], v[14:15], -v[22:23]
	s_delay_alu instid0(VALU_DEP_3) | instskip(SKIP_1) | instid1(VALU_DEP_1)
	v_fma_f64 v[58:59], v[188:189], v[0:1], v[4:5]
	v_mul_f64_e32 v[0:1], v[190:191], v[0:1]
	v_fma_f64 v[56:57], v[188:189], v[2:3], -v[0:1]
	ds_load_b128 v[0:3], v206 offset:7840
	s_wait_dscnt 0x0
	v_mul_f64_e32 v[4:5], v[194:195], v[2:3]
	s_delay_alu instid0(VALU_DEP_1) | instskip(SKIP_1) | instid1(VALU_DEP_1)
	v_fma_f64 v[62:63], v[192:193], v[0:1], v[4:5]
	v_mul_f64_e32 v[0:1], v[194:195], v[0:1]
	v_fma_f64 v[60:61], v[192:193], v[2:3], -v[0:1]
	ds_load_b128 v[0:3], v206 offset:20384
	s_wait_dscnt 0x0
	v_mul_f64_e32 v[4:5], v[202:203], v[2:3]
	s_delay_alu instid0(VALU_DEP_1) | instskip(SKIP_1) | instid1(VALU_DEP_2)
	v_fma_f64 v[66:67], v[200:201], v[0:1], v[4:5]
	v_mul_f64_e32 v[0:1], v[202:203], v[0:1]
	v_add_f64_e32 v[72:73], v[58:59], v[66:67]
	s_delay_alu instid0(VALU_DEP_2) | instskip(SKIP_4) | instid1(VALU_DEP_2)
	v_fma_f64 v[64:65], v[200:201], v[2:3], -v[0:1]
	ds_load_b128 v[0:3], v206 offset:17248
	s_wait_dscnt 0x0
	v_mul_f64_e32 v[4:5], v[198:199], v[2:3]
	v_add_f64_e32 v[80:81], v[56:57], v[64:65]
	v_fma_f64 v[70:71], v[196:197], v[0:1], v[4:5]
	v_mul_f64_e32 v[0:1], v[198:199], v[0:1]
	s_delay_alu instid0(VALU_DEP_2) | instskip(NEXT) | instid1(VALU_DEP_2)
	v_add_f64_e32 v[74:75], v[62:63], v[70:71]
	v_fma_f64 v[68:69], v[196:197], v[2:3], -v[0:1]
	ds_load_b128 v[0:3], v206 offset:9408
	s_wait_dscnt 0x0
	v_mul_f64_e32 v[4:5], v[154:155], v[2:3]
	v_add_f64_e32 v[82:83], v[60:61], v[68:69]
	s_delay_alu instid0(VALU_DEP_2) | instskip(SKIP_1) | instid1(VALU_DEP_1)
	v_fma_f64 v[24:25], v[152:153], v[0:1], v[4:5]
	v_mul_f64_e32 v[0:1], v[154:155], v[0:1]
	v_fma_f64 v[26:27], v[152:153], v[2:3], -v[0:1]
	ds_load_b128 v[0:3], v206 offset:12544
	s_wait_dscnt 0x0
	v_mul_f64_e32 v[4:5], v[158:159], v[2:3]
	s_delay_alu instid0(VALU_DEP_1) | instskip(SKIP_1) | instid1(VALU_DEP_2)
	v_fma_f64 v[28:29], v[156:157], v[0:1], v[4:5]
	v_mul_f64_e32 v[0:1], v[158:159], v[0:1]
	v_add_f64_e64 v[20:21], v[28:29], -v[24:25]
	s_delay_alu instid0(VALU_DEP_2)
	v_fma_f64 v[30:31], v[156:157], v[2:3], -v[0:1]
	ds_load_b128 v[0:3], v206 offset:10976
	v_add_f64_e32 v[44:45], v[24:25], v[28:29]
	v_add_f64_e64 v[24:25], v[12:13], -v[16:17]
	s_wait_dscnt 0x0
	v_mul_f64_e32 v[4:5], v[182:183], v[2:3]
	v_add_f64_e64 v[10:11], v[20:21], -v[12:13]
	v_add_f64_e64 v[22:23], v[30:31], -v[26:27]
	v_add_f64_e32 v[52:53], v[26:27], v[30:31]
	v_add_f64_e32 v[12:13], v[20:21], v[12:13]
	v_add_f64_e64 v[26:27], v[8:9], -v[18:19]
	v_add_f64_e64 v[30:31], v[42:43], -v[40:41]
	;; [unrolled: 1-line block ×3, first 2 shown]
	v_fma_f64 v[32:33], v[180:181], v[0:1], v[4:5]
	v_mul_f64_e32 v[0:1], v[182:183], v[0:1]
	v_mul_f64_e32 v[88:89], s[22:23], v[10:11]
	v_add_f64_e64 v[14:15], v[22:23], -v[8:9]
	v_add_f64_e32 v[8:9], v[22:23], v[8:9]
	v_add_f64_e32 v[92:93], v[12:13], v[16:17]
	v_fma_f64 v[34:35], v[180:181], v[2:3], -v[0:1]
	ds_load_b128 v[0:3], v206 offset:14112
	v_fma_f64 v[12:13], v[24:25], s[16:17], -v[88:89]
	v_mul_f64_e32 v[90:91], s[22:23], v[14:15]
	v_add_f64_e32 v[94:95], v[8:9], v[18:19]
	v_mul_f64_e32 v[8:9], s[12:13], v[28:29]
	s_wait_dscnt 0x0
	v_mul_f64_e32 v[4:5], v[186:187], v[2:3]
	v_fma_f64 v[14:15], v[92:93], s[24:25], v[12:13]
	v_fma_f64 v[12:13], v[26:27], s[16:17], -v[90:91]
	s_delay_alu instid0(VALU_DEP_4) | instskip(NEXT) | instid1(VALU_DEP_4)
	v_fma_f64 v[8:9], v[30:31], s[20:21], -v[8:9]
	v_fma_f64 v[36:37], v[184:185], v[0:1], v[4:5]
	v_mul_f64_e32 v[0:1], v[186:187], v[0:1]
	v_add_f64_e32 v[4:5], v[74:75], v[72:73]
	v_fma_f64 v[12:13], v[94:95], s[24:25], v[12:13]
	s_delay_alu instid0(VALU_DEP_4) | instskip(NEXT) | instid1(VALU_DEP_4)
	v_add_f64_e32 v[76:77], v[32:33], v[36:37]
	v_fma_f64 v[38:39], v[184:185], v[2:3], -v[0:1]
	v_add_f64_e32 v[0:1], v[42:43], v[40:41]
	v_add_f64_e64 v[40:41], v[40:41], -v[44:45]
	v_add_f64_e64 v[42:43], v[52:53], -v[50:51]
	;; [unrolled: 1-line block ×4, first 2 shown]
	v_add_f64_e32 v[78:79], v[76:77], v[4:5]
	v_add_f64_e32 v[84:85], v[34:35], v[38:39]
	;; [unrolled: 1-line block ×5, first 2 shown]
	v_add_f64_e64 v[50:51], v[50:51], -v[48:49]
	v_add_f64_e64 v[44:45], v[48:49], -v[52:53]
	;; [unrolled: 1-line block ×3, first 2 shown]
	v_mul_f64_e32 v[16:17], s[14:15], v[24:25]
	v_mul_f64_e32 v[24:25], s[28:29], v[40:41]
	;; [unrolled: 1-line block ×3, first 2 shown]
	v_add_f64_e64 v[34:35], v[38:39], -v[34:35]
	v_add_f64_e64 v[38:39], v[56:57], -v[64:65]
	v_add_f64_e64 v[64:65], v[82:83], -v[80:81]
	v_add_f64_e32 v[54:55], v[52:53], v[0:1]
	ds_load_b128 v[0:3], v206
	v_add_f64_e32 v[86:87], v[84:85], v[4:5]
	ds_load_b128 v[4:7], v206 offset:1568
	v_add_f64_e64 v[52:53], v[18:19], -v[22:23]
	v_mul_f64_e32 v[18:19], s[14:15], v[26:27]
	v_mul_f64_e32 v[26:27], s[28:29], v[44:45]
	v_fma_f64 v[20:21], v[30:31], s[30:31], -v[24:25]
	v_fma_f64 v[16:17], v[48:49], s[34:35], v[16:17]
	v_fma_f64 v[24:25], v[28:29], s[12:13], v[24:25]
	v_fma_f64 v[10:11], v[50:51], s[20:21], -v[10:11]
	s_wait_dscnt 0x1
	v_add_f64_e32 v[0:1], v[0:1], v[46:47]
	s_wait_dscnt 0x0
	v_add_f64_e32 v[4:5], v[4:5], v[78:79]
	v_add_f64_e32 v[2:3], v[2:3], v[54:55]
	;; [unrolled: 1-line block ×3, first 2 shown]
	v_fma_f64 v[18:19], v[52:53], s[34:35], v[18:19]
	v_fma_f64 v[22:23], v[50:51], s[30:31], -v[26:27]
	v_fma_f64 v[26:27], v[42:43], s[12:13], v[26:27]
	v_fma_f64 v[30:31], v[92:93], s[24:25], v[16:17]
	v_fma_f64 v[46:47], v[46:47], s[18:19], v[0:1]
	v_fma_f64 v[78:79], v[78:79], s[18:19], v[4:5]
	v_fma_f64 v[54:55], v[54:55], s[18:19], v[2:3]
	v_fma_f64 v[40:41], v[94:95], s[24:25], v[18:19]
	s_delay_alu instid0(VALU_DEP_4) | instskip(SKIP_1) | instid1(VALU_DEP_4)
	v_add_f64_e32 v[20:21], v[20:21], v[46:47]
	v_add_f64_e32 v[96:97], v[8:9], v[46:47]
	;; [unrolled: 1-line block ×5, first 2 shown]
	v_add_f64_e64 v[54:55], v[74:75], -v[72:73]
	v_add_f64_e32 v[16:17], v[40:41], v[20:21]
	v_add_f64_e64 v[20:21], v[20:21], -v[40:41]
	v_fma_f64 v[40:41], v[52:53], s[26:27], v[90:91]
	v_add_f64_e64 v[52:53], v[76:77], -v[74:75]
	v_add_f64_e64 v[74:75], v[84:85], -v[82:83]
	v_fma_f64 v[82:83], v[86:87], s[18:19], v[6:7]
	v_add_f64_e64 v[8:9], v[96:97], -v[12:13]
	v_add_f64_e32 v[12:13], v[12:13], v[96:97]
	v_add_f64_e64 v[18:19], v[22:23], -v[30:31]
	v_add_f64_e32 v[22:23], v[30:31], v[22:23]
	v_fma_f64 v[30:31], v[48:49], s[26:27], v[88:89]
	v_add_f64_e32 v[10:11], v[14:15], v[98:99]
	v_add_f64_e64 v[14:15], v[98:99], -v[14:15]
	v_fma_f64 v[28:29], v[94:95], s[24:25], v[40:41]
	v_add_f64_e32 v[40:41], v[24:25], v[46:47]
	v_mul_f64_e32 v[56:57], s[12:13], v[52:53]
	v_mul_f64_e32 v[58:59], s[12:13], v[74:75]
	v_fma_f64 v[30:31], v[92:93], s[24:25], v[30:31]
	s_delay_alu instid0(VALU_DEP_4)
	v_add_f64_e32 v[24:25], v[28:29], v[40:41]
	v_add_f64_e64 v[28:29], v[40:41], -v[28:29]
	v_add_f64_e64 v[40:41], v[62:63], -v[70:71]
	v_fma_f64 v[56:57], v[54:55], s[20:21], -v[56:57]
	v_fma_f64 v[58:59], v[64:65], s[20:21], -v[58:59]
	v_add_f64_e64 v[26:27], v[42:43], -v[30:31]
	v_add_f64_e32 v[30:31], v[30:31], v[42:43]
	v_add_f64_e64 v[42:43], v[60:61], -v[68:69]
	v_add_f64_e64 v[44:45], v[32:33], -v[40:41]
	v_add_f64_e64 v[46:47], v[40:41], -v[36:37]
	v_add_f64_e32 v[40:41], v[32:33], v[40:41]
	v_add_f64_e32 v[66:67], v[56:57], v[78:79]
	;; [unrolled: 1-line block ×3, first 2 shown]
	v_add_f64_e64 v[32:33], v[36:37], -v[32:33]
	v_add_f64_e64 v[48:49], v[34:35], -v[42:43]
	;; [unrolled: 1-line block ×3, first 2 shown]
	v_add_f64_e32 v[42:43], v[34:35], v[42:43]
	v_add_f64_e64 v[34:35], v[38:39], -v[34:35]
	v_mul_f64_e32 v[44:45], s[22:23], v[44:45]
	v_add_f64_e32 v[40:41], v[40:41], v[36:37]
	v_mul_f64_e32 v[36:37], s[14:15], v[46:47]
	v_mul_f64_e32 v[48:49], s[22:23], v[48:49]
	v_add_f64_e32 v[42:43], v[42:43], v[38:39]
	v_mul_f64_e32 v[38:39], s[14:15], v[50:51]
	v_fma_f64 v[60:61], v[46:47], s[16:17], -v[44:45]
	v_fma_f64 v[36:37], v[32:33], s[34:35], v[36:37]
	v_fma_f64 v[32:33], v[32:33], s[26:27], v[44:45]
	s_delay_alu instid0(VALU_DEP_4)
	v_fma_f64 v[38:39], v[34:35], s[34:35], v[38:39]
	v_fma_f64 v[34:35], v[34:35], s[26:27], v[48:49]
	;; [unrolled: 1-line block ×3, first 2 shown]
	v_fma_f64 v[60:61], v[50:51], s[16:17], -v[48:49]
	v_fma_f64 v[36:37], v[40:41], s[24:25], v[36:37]
	v_fma_f64 v[32:33], v[40:41], s[24:25], v[32:33]
	;; [unrolled: 1-line block ×4, first 2 shown]
	v_add_f64_e32 v[58:59], v[62:63], v[68:69]
	v_fma_f64 v[60:61], v[42:43], s[24:25], v[60:61]
	v_add_f64_e64 v[62:63], v[68:69], -v[62:63]
	v_add_f64_e64 v[68:69], v[80:81], -v[84:85]
	s_delay_alu instid0(VALU_DEP_3) | instskip(SKIP_2) | instid1(VALU_DEP_4)
	v_add_f64_e64 v[56:57], v[66:67], -v[60:61]
	v_add_f64_e32 v[60:61], v[60:61], v[66:67]
	v_add_f64_e64 v[66:67], v[72:73], -v[76:77]
	v_mul_f64_e32 v[50:51], s[28:29], v[68:69]
	s_delay_alu instid0(VALU_DEP_2) | instskip(NEXT) | instid1(VALU_DEP_2)
	v_mul_f64_e32 v[46:47], s[28:29], v[66:67]
	v_fma_f64 v[64:65], v[64:65], s[30:31], -v[50:51]
	s_delay_alu instid0(VALU_DEP_2) | instskip(NEXT) | instid1(VALU_DEP_2)
	v_fma_f64 v[54:55], v[54:55], s[30:31], -v[46:47]
	v_add_f64_e32 v[70:71], v[64:65], v[82:83]
	s_delay_alu instid0(VALU_DEP_2) | instskip(NEXT) | instid1(VALU_DEP_2)
	v_add_f64_e32 v[54:55], v[54:55], v[78:79]
	v_add_f64_e64 v[66:67], v[70:71], -v[36:37]
	v_add_f64_e32 v[70:71], v[36:37], v[70:71]
	v_fma_f64 v[36:37], v[52:53], s[12:13], v[46:47]
	s_delay_alu instid0(VALU_DEP_4) | instskip(SKIP_2) | instid1(VALU_DEP_4)
	v_add_f64_e32 v[64:65], v[38:39], v[54:55]
	v_add_f64_e64 v[68:69], v[54:55], -v[38:39]
	v_fma_f64 v[38:39], v[74:75], s[12:13], v[50:51]
	v_add_f64_e32 v[36:37], v[36:37], v[78:79]
	s_delay_alu instid0(VALU_DEP_2) | instskip(NEXT) | instid1(VALU_DEP_2)
	v_add_f64_e32 v[38:39], v[38:39], v[82:83]
	v_add_f64_e32 v[72:73], v[34:35], v[36:37]
	v_add_f64_e64 v[76:77], v[36:37], -v[34:35]
	s_delay_alu instid0(VALU_DEP_3)
	v_add_f64_e64 v[74:75], v[38:39], -v[32:33]
	v_add_f64_e32 v[78:79], v[32:33], v[38:39]
	ds_store_b128 v206, v[0:3]
	ds_store_b128 v206, v[4:7] offset:1568
	ds_store_b128 v206, v[24:27] offset:3136
	;; [unrolled: 1-line block ×13, first 2 shown]
	global_wb scope:SCOPE_SE
	s_wait_dscnt 0x0
	s_barrier_signal -1
	s_barrier_wait -1
	global_inv scope:SCOPE_SE
	s_clause 0x5
	scratch_load_b128 v[6:9], off, off offset:208 th:TH_LOAD_LU
	scratch_load_b128 v[58:61], off, off offset:192 th:TH_LOAD_LU
	scratch_load_b128 v[10:13], off, off th:TH_LOAD_LU
	scratch_load_b128 v[14:17], off, off offset:16 th:TH_LOAD_LU
	scratch_load_b128 v[18:21], off, off offset:32 th:TH_LOAD_LU
	;; [unrolled: 1-line block ×3, first 2 shown]
	ds_load_b128 v[0:3], v206
	s_clause 0x7
	scratch_load_b128 v[26:29], off, off offset:64 th:TH_LOAD_LU
	scratch_load_b128 v[30:33], off, off offset:80 th:TH_LOAD_LU
	;; [unrolled: 1-line block ×8, first 2 shown]
	s_wait_loadcnt_dscnt 0xd00
	v_mul_f64_e32 v[4:5], v[8:9], v[2:3]
	s_delay_alu instid0(VALU_DEP_1) | instskip(SKIP_1) | instid1(VALU_DEP_1)
	v_fma_f64 v[4:5], v[6:7], v[0:1], v[4:5]
	v_mul_f64_e32 v[0:1], v[8:9], v[0:1]
	v_fma_f64 v[6:7], v[6:7], v[2:3], -v[0:1]
	ds_load_b128 v[0:3], v206 offset:10976
	s_wait_loadcnt_dscnt 0xb00
	v_mul_f64_e32 v[8:9], v[12:13], v[2:3]
	s_delay_alu instid0(VALU_DEP_1) | instskip(SKIP_1) | instid1(VALU_DEP_1)
	v_fma_f64 v[8:9], v[10:11], v[0:1], v[8:9]
	v_mul_f64_e32 v[0:1], v[12:13], v[0:1]
	v_fma_f64 v[10:11], v[10:11], v[2:3], -v[0:1]
	ds_load_b128 v[0:3], v206 offset:1568
	;; [unrolled: 7-line block ×13, first 2 shown]
	s_wait_dscnt 0x0
	v_mul_f64_e32 v[56:57], v[60:61], v[2:3]
	s_delay_alu instid0(VALU_DEP_1) | instskip(SKIP_4) | instid1(VALU_DEP_1)
	v_fma_f64 v[56:57], v[58:59], v[0:1], v[56:57]
	v_mul_f64_e32 v[0:1], v[60:61], v[0:1]
	scratch_load_b32 v60, off, off offset:224 th:TH_LOAD_LU ; 4-byte Folded Reload
	v_fma_f64 v[58:59], v[58:59], v[2:3], -v[0:1]
	v_mad_co_u64_u32 v[0:1], null, s6, v254, 0
	v_mad_co_u64_u32 v[1:2], null, s7, v254, v[1:2]
	s_mul_u64 s[6:7], s[4:5], 0x2ae0
	s_delay_alu instid0(VALU_DEP_1) | instskip(SKIP_2) | instid1(VALU_DEP_1)
	v_lshlrev_b64_e32 v[0:1], 4, v[0:1]
	s_wait_loadcnt 0x0
	v_mad_co_u64_u32 v[2:3], null, s4, v60, 0
	v_mad_co_u64_u32 v[60:61], null, s5, v60, v[3:4]
	s_delay_alu instid0(VALU_DEP_1) | instskip(NEXT) | instid1(VALU_DEP_4)
	v_mov_b32_e32 v3, v60
	v_add_co_u32 v60, vcc_lo, s0, v0
	s_wait_alu 0xfffd
	v_add_co_ci_u32_e32 v61, vcc_lo, s1, v1, vcc_lo
	s_delay_alu instid0(VALU_DEP_3)
	v_lshlrev_b64_e32 v[0:1], 4, v[2:3]
	s_mov_b32 s0, 0x515a4f1d
	s_mov_b32 s1, 0x3f47e225
	s_wait_alu 0xfffe
	v_mul_f64_e32 v[2:3], s[0:1], v[6:7]
	v_mul_f64_e32 v[6:7], s[0:1], v[34:35]
	v_add_co_u32 v60, vcc_lo, v60, v0
	s_wait_alu 0xfffd
	v_add_co_ci_u32_e32 v61, vcc_lo, v61, v1, vcc_lo
	v_mul_f64_e32 v[0:1], s[0:1], v[4:5]
	s_delay_alu instid0(VALU_DEP_3) | instskip(SKIP_1) | instid1(VALU_DEP_3)
	v_add_co_u32 v4, vcc_lo, v60, s6
	s_wait_alu 0xfffd
	v_add_co_ci_u32_e32 v5, vcc_lo, s7, v61, vcc_lo
	global_store_b128 v[60:61], v[0:3], off
	v_mul_f64_e32 v[0:1], s[0:1], v[8:9]
	v_mul_f64_e32 v[2:3], s[0:1], v[10:11]
	;; [unrolled: 1-line block ×3, first 2 shown]
	global_store_b128 v[4:5], v[0:3], off
	v_mul_f64_e32 v[0:1], s[0:1], v[12:13]
	v_mul_f64_e32 v[2:3], s[0:1], v[14:15]
	v_add_co_u32 v4, vcc_lo, v4, s2
	s_wait_alu 0xfffd
	v_add_co_ci_u32_e32 v5, vcc_lo, s3, v5, vcc_lo
	v_mul_f64_e32 v[12:13], s[0:1], v[40:41]
	v_mul_f64_e32 v[14:15], s[0:1], v[42:43]
	global_store_b128 v[4:5], v[0:3], off
	v_mul_f64_e32 v[0:1], s[0:1], v[16:17]
	v_mul_f64_e32 v[2:3], s[0:1], v[18:19]
	v_add_co_u32 v4, vcc_lo, v4, s6
	s_wait_alu 0xfffd
	v_add_co_ci_u32_e32 v5, vcc_lo, s7, v5, vcc_lo
	v_mul_f64_e32 v[16:17], s[0:1], v[44:45]
	v_mul_f64_e32 v[18:19], s[0:1], v[46:47]
	global_store_b128 v[4:5], v[0:3], off
	v_mul_f64_e32 v[0:1], s[0:1], v[20:21]
	v_mul_f64_e32 v[2:3], s[0:1], v[22:23]
	v_add_co_u32 v4, vcc_lo, v4, s2
	s_wait_alu 0xfffd
	v_add_co_ci_u32_e32 v5, vcc_lo, s3, v5, vcc_lo
	v_mul_f64_e32 v[20:21], s[0:1], v[48:49]
	s_delay_alu instid0(VALU_DEP_3) | instskip(SKIP_1) | instid1(VALU_DEP_3)
	v_add_co_u32 v8, vcc_lo, v4, s6
	s_wait_alu 0xfffd
	v_add_co_ci_u32_e32 v9, vcc_lo, s7, v5, vcc_lo
	v_mul_f64_e32 v[22:23], s[0:1], v[50:51]
	global_store_b128 v[4:5], v[0:3], off
	v_mul_f64_e32 v[0:1], s[0:1], v[24:25]
	v_mul_f64_e32 v[2:3], s[0:1], v[26:27]
	v_mul_f64_e32 v[4:5], s[0:1], v[32:33]
	v_add_co_u32 v32, vcc_lo, v8, s2
	s_wait_alu 0xfffd
	v_add_co_ci_u32_e32 v33, vcc_lo, s3, v9, vcc_lo
	v_mul_f64_e32 v[24:25], s[0:1], v[52:53]
	v_mul_f64_e32 v[26:27], s[0:1], v[54:55]
	v_add_co_u32 v34, vcc_lo, v32, s6
	s_wait_alu 0xfffd
	v_add_co_ci_u32_e32 v35, vcc_lo, s7, v33, vcc_lo
	global_store_b128 v[8:9], v[0:3], off
	v_mul_f64_e32 v[0:1], s[0:1], v[28:29]
	v_mul_f64_e32 v[2:3], s[0:1], v[30:31]
	;; [unrolled: 1-line block ×5, first 2 shown]
	global_store_b128 v[32:33], v[0:3], off
	v_add_co_u32 v0, vcc_lo, v34, s2
	s_wait_alu 0xfffd
	v_add_co_ci_u32_e32 v1, vcc_lo, s3, v35, vcc_lo
	global_store_b128 v[34:35], v[4:7], off
	v_add_co_u32 v2, vcc_lo, v0, s6
	s_wait_alu 0xfffd
	v_add_co_ci_u32_e32 v3, vcc_lo, s7, v1, vcc_lo
	s_delay_alu instid0(VALU_DEP_2) | instskip(SKIP_1) | instid1(VALU_DEP_2)
	v_add_co_u32 v32, vcc_lo, v2, s2
	s_wait_alu 0xfffd
	v_add_co_ci_u32_e32 v33, vcc_lo, s3, v3, vcc_lo
	s_delay_alu instid0(VALU_DEP_2) | instskip(SKIP_1) | instid1(VALU_DEP_2)
	;; [unrolled: 4-line block ×4, first 2 shown]
	v_add_co_u32 v34, vcc_lo, v6, s6
	s_wait_alu 0xfffd
	v_add_co_ci_u32_e32 v35, vcc_lo, s7, v7, vcc_lo
	global_store_b128 v[0:1], v[8:11], off
	global_store_b128 v[2:3], v[12:15], off
	;; [unrolled: 1-line block ×6, first 2 shown]
.LBB0_2:
	s_nop 0
	s_sendmsg sendmsg(MSG_DEALLOC_VGPRS)
	s_endpgm
	.section	.rodata,"a",@progbits
	.p2align	6, 0x0
	.amdhsa_kernel bluestein_single_back_len1372_dim1_dp_op_CI_CI
		.amdhsa_group_segment_fixed_size 43904
		.amdhsa_private_segment_fixed_size 284
		.amdhsa_kernarg_size 104
		.amdhsa_user_sgpr_count 2
		.amdhsa_user_sgpr_dispatch_ptr 0
		.amdhsa_user_sgpr_queue_ptr 0
		.amdhsa_user_sgpr_kernarg_segment_ptr 1
		.amdhsa_user_sgpr_dispatch_id 0
		.amdhsa_user_sgpr_private_segment_size 0
		.amdhsa_wavefront_size32 1
		.amdhsa_uses_dynamic_stack 0
		.amdhsa_enable_private_segment 1
		.amdhsa_system_sgpr_workgroup_id_x 1
		.amdhsa_system_sgpr_workgroup_id_y 0
		.amdhsa_system_sgpr_workgroup_id_z 0
		.amdhsa_system_sgpr_workgroup_info 0
		.amdhsa_system_vgpr_workitem_id 0
		.amdhsa_next_free_vgpr 256
		.amdhsa_next_free_sgpr 36
		.amdhsa_reserve_vcc 1
		.amdhsa_float_round_mode_32 0
		.amdhsa_float_round_mode_16_64 0
		.amdhsa_float_denorm_mode_32 3
		.amdhsa_float_denorm_mode_16_64 3
		.amdhsa_fp16_overflow 0
		.amdhsa_workgroup_processor_mode 1
		.amdhsa_memory_ordered 1
		.amdhsa_forward_progress 0
		.amdhsa_round_robin_scheduling 0
		.amdhsa_exception_fp_ieee_invalid_op 0
		.amdhsa_exception_fp_denorm_src 0
		.amdhsa_exception_fp_ieee_div_zero 0
		.amdhsa_exception_fp_ieee_overflow 0
		.amdhsa_exception_fp_ieee_underflow 0
		.amdhsa_exception_fp_ieee_inexact 0
		.amdhsa_exception_int_div_zero 0
	.end_amdhsa_kernel
	.text
.Lfunc_end0:
	.size	bluestein_single_back_len1372_dim1_dp_op_CI_CI, .Lfunc_end0-bluestein_single_back_len1372_dim1_dp_op_CI_CI
                                        ; -- End function
	.section	.AMDGPU.csdata,"",@progbits
; Kernel info:
; codeLenInByte = 18232
; NumSgprs: 38
; NumVgprs: 256
; ScratchSize: 284
; MemoryBound: 0
; FloatMode: 240
; IeeeMode: 1
; LDSByteSize: 43904 bytes/workgroup (compile time only)
; SGPRBlocks: 4
; VGPRBlocks: 31
; NumSGPRsForWavesPerEU: 38
; NumVGPRsForWavesPerEU: 256
; Occupancy: 4
; WaveLimiterHint : 1
; COMPUTE_PGM_RSRC2:SCRATCH_EN: 1
; COMPUTE_PGM_RSRC2:USER_SGPR: 2
; COMPUTE_PGM_RSRC2:TRAP_HANDLER: 0
; COMPUTE_PGM_RSRC2:TGID_X_EN: 1
; COMPUTE_PGM_RSRC2:TGID_Y_EN: 0
; COMPUTE_PGM_RSRC2:TGID_Z_EN: 0
; COMPUTE_PGM_RSRC2:TIDIG_COMP_CNT: 0
	.text
	.p2alignl 7, 3214868480
	.fill 96, 4, 3214868480
	.type	__hip_cuid_67523fb234c04315,@object ; @__hip_cuid_67523fb234c04315
	.section	.bss,"aw",@nobits
	.globl	__hip_cuid_67523fb234c04315
__hip_cuid_67523fb234c04315:
	.byte	0                               ; 0x0
	.size	__hip_cuid_67523fb234c04315, 1

	.ident	"AMD clang version 19.0.0git (https://github.com/RadeonOpenCompute/llvm-project roc-6.4.0 25133 c7fe45cf4b819c5991fe208aaa96edf142730f1d)"
	.section	".note.GNU-stack","",@progbits
	.addrsig
	.addrsig_sym __hip_cuid_67523fb234c04315
	.amdgpu_metadata
---
amdhsa.kernels:
  - .args:
      - .actual_access:  read_only
        .address_space:  global
        .offset:         0
        .size:           8
        .value_kind:     global_buffer
      - .actual_access:  read_only
        .address_space:  global
        .offset:         8
        .size:           8
        .value_kind:     global_buffer
      - .actual_access:  read_only
        .address_space:  global
        .offset:         16
        .size:           8
        .value_kind:     global_buffer
      - .actual_access:  read_only
        .address_space:  global
        .offset:         24
        .size:           8
        .value_kind:     global_buffer
      - .actual_access:  read_only
        .address_space:  global
        .offset:         32
        .size:           8
        .value_kind:     global_buffer
      - .offset:         40
        .size:           8
        .value_kind:     by_value
      - .address_space:  global
        .offset:         48
        .size:           8
        .value_kind:     global_buffer
      - .address_space:  global
        .offset:         56
        .size:           8
        .value_kind:     global_buffer
      - .address_space:  global
        .offset:         64
        .size:           8
        .value_kind:     global_buffer
      - .address_space:  global
        .offset:         72
        .size:           8
        .value_kind:     global_buffer
      - .offset:         80
        .size:           4
        .value_kind:     by_value
      - .address_space:  global
        .offset:         88
        .size:           8
        .value_kind:     global_buffer
      - .address_space:  global
        .offset:         96
        .size:           8
        .value_kind:     global_buffer
    .group_segment_fixed_size: 43904
    .kernarg_segment_align: 8
    .kernarg_segment_size: 104
    .language:       OpenCL C
    .language_version:
      - 2
      - 0
    .max_flat_workgroup_size: 196
    .name:           bluestein_single_back_len1372_dim1_dp_op_CI_CI
    .private_segment_fixed_size: 284
    .sgpr_count:     38
    .sgpr_spill_count: 0
    .symbol:         bluestein_single_back_len1372_dim1_dp_op_CI_CI.kd
    .uniform_work_group_size: 1
    .uses_dynamic_stack: false
    .vgpr_count:     256
    .vgpr_spill_count: 70
    .wavefront_size: 32
    .workgroup_processor_mode: 1
amdhsa.target:   amdgcn-amd-amdhsa--gfx1201
amdhsa.version:
  - 1
  - 2
...

	.end_amdgpu_metadata
